;; amdgpu-corpus repo=ROCm/rocFFT kind=compiled arch=gfx1201 opt=O3
	.text
	.amdgcn_target "amdgcn-amd-amdhsa--gfx1201"
	.amdhsa_code_object_version 6
	.protected	fft_rtc_back_len216_factors_9_6_2_2_wgs_252_tpt_18_dim3_sp_ip_CI_sbcc_twdbase8_2step_dirReg_intrinsicReadWrite ; -- Begin function fft_rtc_back_len216_factors_9_6_2_2_wgs_252_tpt_18_dim3_sp_ip_CI_sbcc_twdbase8_2step_dirReg_intrinsicReadWrite
	.globl	fft_rtc_back_len216_factors_9_6_2_2_wgs_252_tpt_18_dim3_sp_ip_CI_sbcc_twdbase8_2step_dirReg_intrinsicReadWrite
	.p2align	8
	.type	fft_rtc_back_len216_factors_9_6_2_2_wgs_252_tpt_18_dim3_sp_ip_CI_sbcc_twdbase8_2step_dirReg_intrinsicReadWrite,@function
fft_rtc_back_len216_factors_9_6_2_2_wgs_252_tpt_18_dim3_sp_ip_CI_sbcc_twdbase8_2step_dirReg_intrinsicReadWrite: ; @fft_rtc_back_len216_factors_9_6_2_2_wgs_252_tpt_18_dim3_sp_ip_CI_sbcc_twdbase8_2step_dirReg_intrinsicReadWrite
; %bb.0:
	s_load_b128 s[4:7], s[0:1], 0x10
	s_mov_b32 s11, 0
	s_mov_b32 s2, 0x49240800
	;; [unrolled: 1-line block ×4, first 2 shown]
	s_delay_alu instid0(SALU_CYCLE_1) | instskip(NEXT) | instid1(SALU_CYCLE_1)
	s_add_nc_u64 s[8:9], s[10:11], s[2:3]
	s_add_co_i32 s9, s9, 0x12492460
	s_delay_alu instid0(SALU_CYCLE_1) | instskip(NEXT) | instid1(SALU_CYCLE_1)
	s_mul_u64 s[12:13], s[8:9], -14
	s_mul_hi_u32 s15, s8, s13
	s_mul_i32 s14, s8, s13
	s_mul_hi_u32 s10, s8, s12
	s_mul_i32 s17, s9, s12
	s_add_nc_u64 s[14:15], s[10:11], s[14:15]
	s_mul_hi_u32 s16, s9, s12
	s_mul_hi_u32 s18, s9, s13
	s_add_co_u32 s10, s14, s17
	s_wait_kmcnt 0x0
	s_load_b64 s[2:3], s[4:5], 0x8
	s_add_co_ci_u32 s10, s15, s16
	s_mul_i32 s12, s9, s13
	s_add_co_ci_u32 s13, s18, 0
	s_delay_alu instid0(SALU_CYCLE_1) | instskip(NEXT) | instid1(SALU_CYCLE_1)
	s_add_nc_u64 s[12:13], s[10:11], s[12:13]
	v_add_co_u32 v1, s8, s8, s12
	s_delay_alu instid0(VALU_DEP_1) | instskip(SKIP_1) | instid1(VALU_DEP_1)
	s_cmp_lg_u32 s8, 0
	s_add_co_ci_u32 s14, s9, s13
	v_readfirstlane_b32 s15, v1
	s_wait_kmcnt 0x0
	s_add_nc_u64 s[8:9], s[2:3], -1
	s_wait_alu 0xfffe
	s_mul_hi_u32 s13, s8, s14
	s_mul_i32 s12, s8, s14
	s_mul_hi_u32 s10, s8, s15
	s_mul_hi_u32 s17, s9, s15
	s_mul_i32 s15, s9, s15
	s_wait_alu 0xfffe
	s_add_nc_u64 s[12:13], s[10:11], s[12:13]
	s_mul_hi_u32 s16, s9, s14
	s_wait_alu 0xfffe
	s_add_co_u32 s10, s12, s15
	s_add_co_ci_u32 s10, s13, s17
	s_mul_i32 s14, s9, s14
	s_add_co_ci_u32 s15, s16, 0
	s_delay_alu instid0(SALU_CYCLE_1) | instskip(SKIP_2) | instid1(SALU_CYCLE_1)
	s_add_nc_u64 s[12:13], s[10:11], s[14:15]
	s_wait_alu 0xfffe
	s_mul_u64 s[14:15], s[12:13], 14
	v_sub_co_u32 v1, s8, s8, s14
	s_delay_alu instid0(VALU_DEP_1) | instskip(SKIP_1) | instid1(VALU_DEP_1)
	s_cmp_lg_u32 s8, 0
	s_sub_co_ci_u32 s16, s9, s15
	v_sub_co_u32 v2, s10, v1, 14
	s_delay_alu instid0(VALU_DEP_1) | instskip(SKIP_2) | instid1(VALU_DEP_1)
	s_cmp_lg_u32 s10, 0
	s_add_nc_u64 s[14:15], s[12:13], 2
	s_sub_co_ci_u32 s10, s16, 0
	v_readfirstlane_b32 s8, v2
	s_delay_alu instid0(VALU_DEP_1)
	s_cmp_gt_u32 s8, 13
	s_add_nc_u64 s[8:9], s[12:13], 1
	s_cselect_b32 s17, -1, 0
	s_cmp_eq_u32 s10, 0
	s_cselect_b32 s10, s17, -1
	v_readfirstlane_b32 s17, v1
	s_cmp_lg_u32 s10, 0
	s_wait_alu 0xfffe
	s_cselect_b32 s8, s14, s8
	s_cselect_b32 s9, s15, s9
	s_cmp_gt_u32 s17, 13
	s_cselect_b32 s10, -1, 0
	s_cmp_eq_u32 s16, 0
	s_mov_b64 s[16:17], 0
	s_cselect_b32 s10, s10, -1
	s_delay_alu instid0(SALU_CYCLE_1)
	s_cmp_lg_u32 s10, 0
	s_mov_b32 s10, ttmp9
	s_wait_alu 0xfffe
	s_cselect_b32 s9, s9, s13
	s_cselect_b32 s8, s8, s12
	s_wait_alu 0xfffe
	s_add_nc_u64 s[12:13], s[8:9], 1
	s_wait_alu 0xfffe
	v_cmp_lt_u64_e64 s8, s[10:11], s[12:13]
	s_delay_alu instid0(VALU_DEP_1)
	s_and_b32 vcc_lo, exec_lo, s8
	s_cbranch_vccnz .LBB0_2
; %bb.1:
	v_cvt_f32_u32_e32 v1, s12
	s_sub_co_i32 s9, 0, s12
	s_mov_b32 s17, s11
	s_delay_alu instid0(VALU_DEP_1) | instskip(NEXT) | instid1(TRANS32_DEP_1)
	v_rcp_iflag_f32_e32 v1, v1
	v_mul_f32_e32 v1, 0x4f7ffffe, v1
	s_delay_alu instid0(VALU_DEP_1) | instskip(NEXT) | instid1(VALU_DEP_1)
	v_cvt_u32_f32_e32 v1, v1
	v_readfirstlane_b32 s8, v1
	s_wait_alu 0xfffe
	s_delay_alu instid0(VALU_DEP_1)
	s_mul_i32 s9, s9, s8
	s_wait_alu 0xfffe
	s_mul_hi_u32 s9, s8, s9
	s_wait_alu 0xfffe
	s_add_co_i32 s8, s8, s9
	s_wait_alu 0xfffe
	s_mul_hi_u32 s8, s10, s8
	s_wait_alu 0xfffe
	s_mul_i32 s9, s8, s12
	s_add_co_i32 s14, s8, 1
	s_wait_alu 0xfffe
	s_sub_co_i32 s9, s10, s9
	s_wait_alu 0xfffe
	s_sub_co_i32 s15, s9, s12
	s_cmp_ge_u32 s9, s12
	s_cselect_b32 s8, s14, s8
	s_wait_alu 0xfffe
	s_cselect_b32 s9, s15, s9
	s_add_co_i32 s14, s8, 1
	s_wait_alu 0xfffe
	s_cmp_ge_u32 s9, s12
	s_cselect_b32 s16, s14, s8
.LBB0_2:
	s_load_b64 s[22:23], s[4:5], 0x10
	s_load_b64 s[14:15], s[6:7], 0x8
	s_mov_b64 s[18:19], s[16:17]
	s_wait_kmcnt 0x0
	v_cmp_lt_u64_e64 s4, s[16:17], s[22:23]
	s_delay_alu instid0(VALU_DEP_1)
	s_and_b32 vcc_lo, exec_lo, s4
	s_cbranch_vccnz .LBB0_4
; %bb.3:
	v_cvt_f32_u32_e32 v1, s22
	s_sub_co_i32 s5, 0, s22
	s_mov_b32 s19, 0
	s_delay_alu instid0(VALU_DEP_1) | instskip(NEXT) | instid1(TRANS32_DEP_1)
	v_rcp_iflag_f32_e32 v1, v1
	v_mul_f32_e32 v1, 0x4f7ffffe, v1
	s_delay_alu instid0(VALU_DEP_1) | instskip(NEXT) | instid1(VALU_DEP_1)
	v_cvt_u32_f32_e32 v1, v1
	v_readfirstlane_b32 s4, v1
	s_delay_alu instid0(VALU_DEP_1) | instskip(NEXT) | instid1(SALU_CYCLE_1)
	s_mul_i32 s5, s5, s4
	s_mul_hi_u32 s5, s4, s5
	s_delay_alu instid0(SALU_CYCLE_1) | instskip(NEXT) | instid1(SALU_CYCLE_1)
	s_add_co_i32 s4, s4, s5
	s_mul_hi_u32 s4, s16, s4
	s_delay_alu instid0(SALU_CYCLE_1) | instskip(NEXT) | instid1(SALU_CYCLE_1)
	s_mul_i32 s4, s4, s22
	s_sub_co_i32 s4, s16, s4
	s_delay_alu instid0(SALU_CYCLE_1) | instskip(SKIP_2) | instid1(SALU_CYCLE_1)
	s_sub_co_i32 s5, s4, s22
	s_cmp_ge_u32 s4, s22
	s_cselect_b32 s4, s5, s4
	s_sub_co_i32 s5, s4, s22
	s_cmp_ge_u32 s4, s22
	s_cselect_b32 s18, s5, s4
.LBB0_4:
	s_load_b64 s[4:5], s[0:1], 0x50
	s_clause 0x1
	s_load_b64 s[8:9], s[6:7], 0x0
	s_load_b64 s[20:21], s[6:7], 0x10
	s_mul_u64 s[24:25], s[22:23], s[12:13]
	s_mov_b64 s[22:23], 0
	s_wait_kmcnt 0x0
	v_cmp_lt_u64_e64 s9, s[10:11], s[24:25]
	s_delay_alu instid0(VALU_DEP_1)
	s_and_b32 vcc_lo, exec_lo, s9
	s_cbranch_vccnz .LBB0_6
; %bb.5:
	v_cvt_f32_u32_e32 v1, s24
	s_sub_co_i32 s22, 0, s24
	s_delay_alu instid0(VALU_DEP_1) | instskip(NEXT) | instid1(TRANS32_DEP_1)
	v_rcp_iflag_f32_e32 v1, v1
	v_mul_f32_e32 v1, 0x4f7ffffe, v1
	s_delay_alu instid0(VALU_DEP_1) | instskip(NEXT) | instid1(VALU_DEP_1)
	v_cvt_u32_f32_e32 v1, v1
	v_readfirstlane_b32 s9, v1
	s_wait_alu 0xfffe
	s_delay_alu instid0(VALU_DEP_1)
	s_mul_i32 s22, s22, s9
	s_wait_alu 0xfffe
	s_mul_hi_u32 s22, s9, s22
	s_wait_alu 0xfffe
	s_add_co_i32 s9, s9, s22
	s_wait_alu 0xfffe
	s_mul_hi_u32 s9, s10, s9
	s_wait_alu 0xfffe
	s_mul_i32 s22, s9, s24
	s_add_co_i32 s23, s9, 1
	s_wait_alu 0xfffe
	s_sub_co_i32 s22, s10, s22
	s_wait_alu 0xfffe
	s_sub_co_i32 s25, s22, s24
	s_cmp_ge_u32 s22, s24
	s_cselect_b32 s9, s23, s9
	s_wait_alu 0xfffe
	s_cselect_b32 s22, s25, s22
	s_add_co_i32 s25, s9, 1
	s_wait_alu 0xfffe
	s_cmp_ge_u32 s22, s24
	s_mov_b32 s23, 0
	s_cselect_b32 s22, s25, s9
.LBB0_6:
	v_mul_u32_u24_e32 v1, 0x124a, v0
	s_load_b64 s[6:7], s[6:7], 0x18
	s_mul_u64 s[12:13], s[16:17], s[12:13]
	v_mov_b32_e32 v12, 0
	s_wait_alu 0xfffe
	s_sub_nc_u64 s[10:11], s[10:11], s[12:13]
	v_lshrrev_b32_e32 v39, 16, v1
	s_wait_alu 0xfffe
	s_mul_u64 s[10:11], s[10:11], 14
	s_mul_u64 s[12:13], s[20:21], s[18:19]
	s_wait_alu 0xfffe
	s_add_nc_u64 s[18:19], s[10:11], 14
	s_mul_u64 s[16:17], s[14:15], s[10:11]
	v_mul_lo_u16 v1, v39, 14
	s_wait_alu 0xfffe
	s_add_nc_u64 s[12:13], s[12:13], s[16:17]
	v_mov_b32_e32 v6, 0
	s_delay_alu instid0(VALU_DEP_2) | instskip(NEXT) | instid1(VALU_DEP_1)
	v_sub_nc_u16 v1, v0, v1
	v_and_b32_e32 v43, 0xffff, v1
	s_wait_kmcnt 0x0
	s_mul_u64 s[6:7], s[6:7], s[22:23]
	s_wait_alu 0xfffe
	s_add_nc_u64 s[6:7], s[6:7], s[12:13]
	v_mad_co_u64_u32 v[1:2], null, s14, v43, 0
	s_delay_alu instid0(VALU_DEP_1)
	v_mov_b32_e32 v4, v2
	v_add_co_u32 v2, s9, s10, v43
	s_wait_alu 0xf1ff
	v_add_co_ci_u32_e64 v3, null, s11, 0, s9
	v_cmp_le_u64_e64 s9, s[18:19], s[2:3]
	v_mad_co_u64_u32 v[4:5], null, s15, v43, v[4:5]
	s_delay_alu instid0(VALU_DEP_3) | instskip(SKIP_1) | instid1(VALU_DEP_4)
	v_cmp_gt_u64_e32 vcc_lo, s[2:3], v[2:3]
	v_mov_b32_e32 v5, 0
	s_or_b32 s7, s9, vcc_lo
	s_delay_alu instid0(SALU_CYCLE_1)
	s_and_saveexec_b32 s3, s7
	s_cbranch_execz .LBB0_8
; %bb.7:
	v_mul_lo_u32 v3, s8, v39
	v_mov_b32_e32 v4, 0
	s_delay_alu instid0(VALU_DEP_2) | instskip(NEXT) | instid1(VALU_DEP_1)
	v_add3_u32 v3, s6, v1, v3
	v_lshlrev_b64_e32 v[3:4], 3, v[3:4]
	s_delay_alu instid0(VALU_DEP_1) | instskip(SKIP_1) | instid1(VALU_DEP_2)
	v_add_co_u32 v3, s2, s4, v3
	s_wait_alu 0xf1ff
	v_add_co_ci_u32_e64 v4, s2, s5, v4, s2
	global_load_b64 v[5:6], v[3:4], off
.LBB0_8:
	s_wait_alu 0xfffe
	s_or_b32 exec_lo, exec_lo, s3
	v_mov_b32_e32 v11, 0
	s_and_saveexec_b32 s3, s7
	s_cbranch_execz .LBB0_10
; %bb.9:
	v_dual_mov_b32 v4, 0 :: v_dual_add_nc_u32 v3, 24, v39
	s_delay_alu instid0(VALU_DEP_1) | instskip(NEXT) | instid1(VALU_DEP_1)
	v_mul_lo_u32 v3, s8, v3
	v_add3_u32 v3, s6, v1, v3
	s_delay_alu instid0(VALU_DEP_1) | instskip(NEXT) | instid1(VALU_DEP_1)
	v_lshlrev_b64_e32 v[3:4], 3, v[3:4]
	v_add_co_u32 v3, s2, s4, v3
	s_wait_alu 0xf1ff
	s_delay_alu instid0(VALU_DEP_2)
	v_add_co_ci_u32_e64 v4, s2, s5, v4, s2
	global_load_b64 v[11:12], v[3:4], off
.LBB0_10:
	s_wait_alu 0xfffe
	s_or_b32 exec_lo, exec_lo, s3
	v_dual_mov_b32 v16, 0 :: v_dual_mov_b32 v19, 0
	v_mov_b32_e32 v20, 0
	s_and_saveexec_b32 s3, s7
	s_cbranch_execz .LBB0_12
; %bb.11:
	v_dual_mov_b32 v4, 0 :: v_dual_add_nc_u32 v3, 48, v39
	s_delay_alu instid0(VALU_DEP_1) | instskip(NEXT) | instid1(VALU_DEP_1)
	v_mul_lo_u32 v3, s8, v3
	v_add3_u32 v3, s6, v1, v3
	s_delay_alu instid0(VALU_DEP_1) | instskip(NEXT) | instid1(VALU_DEP_1)
	v_lshlrev_b64_e32 v[3:4], 3, v[3:4]
	v_add_co_u32 v3, s2, s4, v3
	s_wait_alu 0xf1ff
	s_delay_alu instid0(VALU_DEP_2)
	v_add_co_ci_u32_e64 v4, s2, s5, v4, s2
	global_load_b64 v[19:20], v[3:4], off
.LBB0_12:
	s_wait_alu 0xfffe
	s_or_b32 exec_lo, exec_lo, s3
	v_dual_mov_b32 v15, 0 :: v_dual_add_nc_u32 v40, 0x48, v39
	s_and_saveexec_b32 s3, s7
	s_cbranch_execz .LBB0_14
; %bb.13:
	s_delay_alu instid0(VALU_DEP_1) | instskip(SKIP_1) | instid1(VALU_DEP_2)
	v_mul_lo_u32 v3, s8, v40
	v_mov_b32_e32 v4, 0
	v_add3_u32 v3, s6, v1, v3
	s_delay_alu instid0(VALU_DEP_1) | instskip(NEXT) | instid1(VALU_DEP_1)
	v_lshlrev_b64_e32 v[3:4], 3, v[3:4]
	v_add_co_u32 v3, s2, s4, v3
	s_wait_alu 0xf1ff
	s_delay_alu instid0(VALU_DEP_2)
	v_add_co_ci_u32_e64 v4, s2, s5, v4, s2
	global_load_b64 v[15:16], v[3:4], off
.LBB0_14:
	s_wait_alu 0xfffe
	s_or_b32 exec_lo, exec_lo, s3
	v_dual_mov_b32 v8, 0 :: v_dual_mov_b32 v9, 0
	v_mov_b32_e32 v10, 0
	s_and_saveexec_b32 s3, s7
	s_cbranch_execz .LBB0_16
; %bb.15:
	v_or_b32_e32 v3, 0x60, v39
	v_mov_b32_e32 v4, 0
	s_delay_alu instid0(VALU_DEP_2) | instskip(NEXT) | instid1(VALU_DEP_1)
	v_mul_lo_u32 v3, s8, v3
	v_add3_u32 v3, s6, v1, v3
	s_delay_alu instid0(VALU_DEP_1) | instskip(NEXT) | instid1(VALU_DEP_1)
	v_lshlrev_b64_e32 v[3:4], 3, v[3:4]
	v_add_co_u32 v3, s2, s4, v3
	s_wait_alu 0xf1ff
	s_delay_alu instid0(VALU_DEP_2)
	v_add_co_ci_u32_e64 v4, s2, s5, v4, s2
	global_load_b64 v[9:10], v[3:4], off
.LBB0_16:
	s_wait_alu 0xfffe
	s_or_b32 exec_lo, exec_lo, s3
	v_mov_b32_e32 v7, 0
	s_and_saveexec_b32 s3, s7
	s_cbranch_execz .LBB0_18
; %bb.17:
	v_dual_mov_b32 v4, 0 :: v_dual_add_nc_u32 v3, 0x78, v39
	s_delay_alu instid0(VALU_DEP_1) | instskip(NEXT) | instid1(VALU_DEP_1)
	v_mul_lo_u32 v3, s8, v3
	v_add3_u32 v3, s6, v1, v3
	s_delay_alu instid0(VALU_DEP_1) | instskip(NEXT) | instid1(VALU_DEP_1)
	v_lshlrev_b64_e32 v[3:4], 3, v[3:4]
	v_add_co_u32 v3, s2, s4, v3
	s_wait_alu 0xf1ff
	s_delay_alu instid0(VALU_DEP_2)
	v_add_co_ci_u32_e64 v4, s2, s5, v4, s2
	global_load_b64 v[7:8], v[3:4], off
.LBB0_18:
	s_wait_alu 0xfffe
	s_or_b32 exec_lo, exec_lo, s3
	v_dual_mov_b32 v32, 0 :: v_dual_mov_b32 v29, 0
	v_mov_b32_e32 v30, 0
	s_and_saveexec_b32 s3, s7
	s_cbranch_execz .LBB0_20
; %bb.19:
	v_dual_mov_b32 v4, 0 :: v_dual_add_nc_u32 v3, 0x90, v39
	s_delay_alu instid0(VALU_DEP_1) | instskip(NEXT) | instid1(VALU_DEP_1)
	v_mul_lo_u32 v3, s8, v3
	v_add3_u32 v3, s6, v1, v3
	s_delay_alu instid0(VALU_DEP_1) | instskip(NEXT) | instid1(VALU_DEP_1)
	v_lshlrev_b64_e32 v[3:4], 3, v[3:4]
	v_add_co_u32 v3, s2, s4, v3
	s_wait_alu 0xf1ff
	s_delay_alu instid0(VALU_DEP_2)
	v_add_co_ci_u32_e64 v4, s2, s5, v4, s2
	global_load_b64 v[29:30], v[3:4], off
.LBB0_20:
	s_wait_alu 0xfffe
	s_or_b32 exec_lo, exec_lo, s3
	v_mov_b32_e32 v31, 0
	s_and_saveexec_b32 s3, s7
	s_cbranch_execz .LBB0_22
; %bb.21:
	v_dual_mov_b32 v4, 0 :: v_dual_add_nc_u32 v3, 0xa8, v39
	s_delay_alu instid0(VALU_DEP_1) | instskip(NEXT) | instid1(VALU_DEP_1)
	v_mul_lo_u32 v3, s8, v3
	v_add3_u32 v3, s6, v1, v3
	s_delay_alu instid0(VALU_DEP_1) | instskip(NEXT) | instid1(VALU_DEP_1)
	v_lshlrev_b64_e32 v[3:4], 3, v[3:4]
	v_add_co_u32 v3, s2, s4, v3
	s_wait_alu 0xf1ff
	s_delay_alu instid0(VALU_DEP_2)
	v_add_co_ci_u32_e64 v4, s2, s5, v4, s2
	global_load_b64 v[31:32], v[3:4], off
.LBB0_22:
	s_wait_alu 0xfffe
	s_or_b32 exec_lo, exec_lo, s3
	v_dual_mov_b32 v4, 0 :: v_dual_mov_b32 v37, 0
	v_mov_b32_e32 v38, 0
	s_and_saveexec_b32 s3, s7
	s_cbranch_execz .LBB0_24
; %bb.23:
	v_or_b32_e32 v3, 0xc0, v39
	v_mov_b32_e32 v14, 0
	s_delay_alu instid0(VALU_DEP_2) | instskip(NEXT) | instid1(VALU_DEP_1)
	v_mul_lo_u32 v3, s8, v3
	v_add3_u32 v13, s6, v1, v3
	s_delay_alu instid0(VALU_DEP_1) | instskip(NEXT) | instid1(VALU_DEP_1)
	v_lshlrev_b64_e32 v[13:14], 3, v[13:14]
	v_add_co_u32 v13, s2, s4, v13
	s_wait_alu 0xf1ff
	s_delay_alu instid0(VALU_DEP_2)
	v_add_co_ci_u32_e64 v14, s2, s5, v14, s2
	global_load_b64 v[37:38], v[13:14], off
.LBB0_24:
	s_wait_alu 0xfffe
	s_or_b32 exec_lo, exec_lo, s3
	v_cmp_gt_u32_e64 s3, 0x54, v0
	v_cmp_lt_u32_e64 s2, 0x53, v0
	v_cndmask_b32_e64 v13, 0, 1, vcc_lo
	v_add_nc_u32_e32 v41, 18, v39
	s_wait_alu 0xf1ff
	v_cndmask_b32_e64 v3, 0, 1, s3
	s_or_b32 vcc_lo, s2, s9
	s_wait_alu 0xfffe
	s_delay_alu instid0(VALU_DEP_1) | instskip(NEXT) | instid1(VALU_DEP_1)
	v_cndmask_b32_e32 v3, v13, v3, vcc_lo
	v_and_b32_e32 v3, 1, v3
	s_delay_alu instid0(VALU_DEP_1)
	v_cmp_eq_u32_e32 vcc_lo, 1, v3
	v_mov_b32_e32 v3, 0
	s_and_saveexec_b32 s3, vcc_lo
	s_cbranch_execz .LBB0_26
; %bb.25:
	v_mul_lo_u32 v3, s8, v41
	v_mov_b32_e32 v4, 0
	s_delay_alu instid0(VALU_DEP_2) | instskip(NEXT) | instid1(VALU_DEP_1)
	v_add3_u32 v3, s6, v1, v3
	v_lshlrev_b64_e32 v[3:4], 3, v[3:4]
	s_delay_alu instid0(VALU_DEP_1) | instskip(SKIP_1) | instid1(VALU_DEP_2)
	v_add_co_u32 v3, s2, s4, v3
	s_wait_alu 0xf1ff
	v_add_co_ci_u32_e64 v4, s2, s5, v4, s2
	global_load_b64 v[3:4], v[3:4], off
.LBB0_26:
	s_wait_alu 0xfffe
	s_or_b32 exec_lo, exec_lo, s3
	v_dual_mov_b32 v18, 0 :: v_dual_mov_b32 v13, 0
	v_mov_b32_e32 v14, 0
	s_and_saveexec_b32 s3, vcc_lo
	s_cbranch_execz .LBB0_28
; %bb.27:
	v_dual_mov_b32 v14, 0 :: v_dual_add_nc_u32 v13, 42, v39
	s_delay_alu instid0(VALU_DEP_1) | instskip(NEXT) | instid1(VALU_DEP_1)
	v_mul_lo_u32 v13, s8, v13
	v_add3_u32 v13, s6, v1, v13
	s_delay_alu instid0(VALU_DEP_1) | instskip(NEXT) | instid1(VALU_DEP_1)
	v_lshlrev_b64_e32 v[13:14], 3, v[13:14]
	v_add_co_u32 v13, s2, s4, v13
	s_wait_alu 0xf1ff
	s_delay_alu instid0(VALU_DEP_2)
	v_add_co_ci_u32_e64 v14, s2, s5, v14, s2
	global_load_b64 v[13:14], v[13:14], off
.LBB0_28:
	s_wait_alu 0xfffe
	s_or_b32 exec_lo, exec_lo, s3
	v_mov_b32_e32 v17, 0
	s_and_saveexec_b32 s3, vcc_lo
	s_cbranch_execz .LBB0_30
; %bb.29:
	v_dual_mov_b32 v18, 0 :: v_dual_add_nc_u32 v17, 0x42, v39
	s_delay_alu instid0(VALU_DEP_1) | instskip(NEXT) | instid1(VALU_DEP_1)
	v_mul_lo_u32 v17, s8, v17
	v_add3_u32 v17, s6, v1, v17
	s_delay_alu instid0(VALU_DEP_1) | instskip(NEXT) | instid1(VALU_DEP_1)
	v_lshlrev_b64_e32 v[17:18], 3, v[17:18]
	v_add_co_u32 v17, s2, s4, v17
	s_wait_alu 0xf1ff
	s_delay_alu instid0(VALU_DEP_2)
	v_add_co_ci_u32_e64 v18, s2, s5, v18, s2
	global_load_b64 v[17:18], v[17:18], off
.LBB0_30:
	s_wait_alu 0xfffe
	s_or_b32 exec_lo, exec_lo, s3
	v_dual_mov_b32 v23, 0 :: v_dual_add_nc_u32 v42, 0x5a, v39
	v_mov_b32_e32 v22, 0
	v_mov_b32_e32 v24, 0
	s_and_saveexec_b32 s3, vcc_lo
	s_cbranch_execz .LBB0_32
; %bb.31:
	v_mul_lo_u32 v21, s8, v42
	v_mov_b32_e32 v24, 0
	s_delay_alu instid0(VALU_DEP_2) | instskip(NEXT) | instid1(VALU_DEP_1)
	v_add3_u32 v23, s6, v1, v21
	v_lshlrev_b64_e32 v[23:24], 3, v[23:24]
	s_delay_alu instid0(VALU_DEP_1) | instskip(SKIP_1) | instid1(VALU_DEP_2)
	v_add_co_u32 v23, s2, s4, v23
	s_wait_alu 0xf1ff
	v_add_co_ci_u32_e64 v24, s2, s5, v24, s2
	global_load_b64 v[23:24], v[23:24], off
.LBB0_32:
	s_wait_alu 0xfffe
	s_or_b32 exec_lo, exec_lo, s3
	v_mov_b32_e32 v21, 0
	s_and_saveexec_b32 s3, vcc_lo
	s_cbranch_execz .LBB0_34
; %bb.33:
	v_dual_mov_b32 v22, 0 :: v_dual_add_nc_u32 v21, 0x72, v39
	s_delay_alu instid0(VALU_DEP_1) | instskip(NEXT) | instid1(VALU_DEP_1)
	v_mul_lo_u32 v21, s8, v21
	v_add3_u32 v21, s6, v1, v21
	s_delay_alu instid0(VALU_DEP_1) | instskip(NEXT) | instid1(VALU_DEP_1)
	v_lshlrev_b64_e32 v[21:22], 3, v[21:22]
	v_add_co_u32 v21, s2, s4, v21
	s_wait_alu 0xf1ff
	s_delay_alu instid0(VALU_DEP_2)
	v_add_co_ci_u32_e64 v22, s2, s5, v22, s2
	global_load_b64 v[21:22], v[21:22], off
.LBB0_34:
	s_wait_alu 0xfffe
	s_or_b32 exec_lo, exec_lo, s3
	v_dual_mov_b32 v28, 0 :: v_dual_mov_b32 v25, 0
	v_mov_b32_e32 v26, 0
	s_and_saveexec_b32 s3, vcc_lo
	s_cbranch_execz .LBB0_36
; %bb.35:
	v_dual_mov_b32 v26, 0 :: v_dual_add_nc_u32 v25, 0x8a, v39
	s_delay_alu instid0(VALU_DEP_1) | instskip(NEXT) | instid1(VALU_DEP_1)
	v_mul_lo_u32 v25, s8, v25
	v_add3_u32 v25, s6, v1, v25
	s_delay_alu instid0(VALU_DEP_1) | instskip(NEXT) | instid1(VALU_DEP_1)
	v_lshlrev_b64_e32 v[25:26], 3, v[25:26]
	v_add_co_u32 v25, s2, s4, v25
	s_wait_alu 0xf1ff
	s_delay_alu instid0(VALU_DEP_2)
	v_add_co_ci_u32_e64 v26, s2, s5, v26, s2
	global_load_b64 v[25:26], v[25:26], off
.LBB0_36:
	s_wait_alu 0xfffe
	s_or_b32 exec_lo, exec_lo, s3
	v_mov_b32_e32 v27, 0
	s_and_saveexec_b32 s3, vcc_lo
	s_cbranch_execz .LBB0_38
; %bb.37:
	v_dual_mov_b32 v28, 0 :: v_dual_add_nc_u32 v27, 0xa2, v39
	s_delay_alu instid0(VALU_DEP_1) | instskip(NEXT) | instid1(VALU_DEP_1)
	v_mul_lo_u32 v27, s8, v27
	v_add3_u32 v27, s6, v1, v27
	s_delay_alu instid0(VALU_DEP_1) | instskip(NEXT) | instid1(VALU_DEP_1)
	v_lshlrev_b64_e32 v[27:28], 3, v[27:28]
	v_add_co_u32 v27, s2, s4, v27
	s_wait_alu 0xf1ff
	s_delay_alu instid0(VALU_DEP_2)
	v_add_co_ci_u32_e64 v28, s2, s5, v28, s2
	global_load_b64 v[27:28], v[27:28], off
.LBB0_38:
	s_wait_alu 0xfffe
	s_or_b32 exec_lo, exec_lo, s3
	v_dual_mov_b32 v34, 0 :: v_dual_mov_b32 v35, 0
	v_mov_b32_e32 v36, 0
	s_and_saveexec_b32 s3, vcc_lo
	s_cbranch_execz .LBB0_40
; %bb.39:
	v_dual_mov_b32 v36, 0 :: v_dual_add_nc_u32 v33, 0xba, v39
	s_delay_alu instid0(VALU_DEP_1) | instskip(NEXT) | instid1(VALU_DEP_1)
	v_mul_lo_u32 v33, s8, v33
	v_add3_u32 v35, s6, v1, v33
	s_delay_alu instid0(VALU_DEP_1) | instskip(NEXT) | instid1(VALU_DEP_1)
	v_lshlrev_b64_e32 v[35:36], 3, v[35:36]
	v_add_co_u32 v35, s2, s4, v35
	s_wait_alu 0xf1ff
	s_delay_alu instid0(VALU_DEP_2)
	v_add_co_ci_u32_e64 v36, s2, s5, v36, s2
	global_load_b64 v[35:36], v[35:36], off
.LBB0_40:
	s_wait_alu 0xfffe
	s_or_b32 exec_lo, exec_lo, s3
	s_load_b64 s[10:11], s[0:1], 0x0
	v_mov_b32_e32 v33, 0
	s_and_saveexec_b32 s2, vcc_lo
	s_cbranch_execz .LBB0_42
; %bb.41:
	v_dual_mov_b32 v34, 0 :: v_dual_add_nc_u32 v33, 0xd2, v39
	s_delay_alu instid0(VALU_DEP_1) | instskip(NEXT) | instid1(VALU_DEP_1)
	v_mul_lo_u32 v33, s8, v33
	v_add3_u32 v33, s6, v1, v33
	s_delay_alu instid0(VALU_DEP_1) | instskip(NEXT) | instid1(VALU_DEP_1)
	v_lshlrev_b64_e32 v[33:34], 3, v[33:34]
	v_add_co_u32 v33, vcc_lo, s4, v33
	s_wait_alu 0xfffd
	s_delay_alu instid0(VALU_DEP_2)
	v_add_co_ci_u32_e32 v34, vcc_lo, s5, v34, vcc_lo
	global_load_b64 v[33:34], v[33:34], off
.LBB0_42:
	s_wait_alu 0xfffe
	s_or_b32 exec_lo, exec_lo, s2
	s_wait_loadcnt 0x0
	v_dual_add_f32 v44, v11, v37 :: v_dual_add_f32 v45, v12, v38
	v_dual_sub_f32 v37, v11, v37 :: v_dual_sub_f32 v38, v12, v38
	v_dual_add_f32 v46, v19, v31 :: v_dual_add_f32 v47, v20, v32
	v_dual_sub_f32 v31, v19, v31 :: v_dual_sub_f32 v32, v20, v32
	s_delay_alu instid0(VALU_DEP_3) | instskip(SKIP_1) | instid1(VALU_DEP_2)
	v_dual_mul_f32 v19, 0x3f248dbb, v37 :: v_dual_mul_f32 v20, 0x3f248dbb, v38
	v_dual_fmamk_f32 v11, v44, 0x3f441b7d, v5 :: v_dual_fmamk_f32 v12, v45, 0x3f441b7d, v6
	v_dual_add_f32 v48, v15, v29 :: v_dual_fmac_f32 v19, 0x3f7c1c5c, v31
	s_delay_alu instid0(VALU_DEP_3) | instskip(NEXT) | instid1(VALU_DEP_3)
	v_dual_fmac_f32 v20, 0x3f7c1c5c, v32 :: v_dual_add_f32 v51, v16, v30
	v_dual_fmac_f32 v11, 0x3e31d0d4, v46 :: v_dual_sub_f32 v52, v9, v7
	s_delay_alu instid0(VALU_DEP_4) | instskip(SKIP_1) | instid1(VALU_DEP_3)
	v_dual_sub_f32 v53, v10, v8 :: v_dual_fmac_f32 v12, 0x3e31d0d4, v47
	v_dual_sub_f32 v49, v15, v29 :: v_dual_sub_f32 v50, v16, v30
	v_dual_fmac_f32 v11, -0.5, v48 :: v_dual_add_f32 v54, v9, v7
	s_delay_alu instid0(VALU_DEP_3) | instskip(NEXT) | instid1(VALU_DEP_3)
	v_dual_fmac_f32 v12, -0.5, v51 :: v_dual_add_f32 v55, v10, v8
	v_dual_fmac_f32 v19, 0x3f5db3d7, v49 :: v_dual_fmac_f32 v20, 0x3f5db3d7, v50
	v_dual_mul_f32 v30, 0xbf248dbb, v52 :: v_dual_mul_f32 v29, 0xbf248dbb, v53
	s_delay_alu instid0(VALU_DEP_3) | instskip(NEXT) | instid1(VALU_DEP_3)
	v_dual_fmamk_f32 v56, v54, 0x3f441b7d, v5 :: v_dual_fmamk_f32 v57, v55, 0x3f441b7d, v6
	v_dual_fmac_f32 v19, 0x3eaf1d44, v52 :: v_dual_fmac_f32 v20, 0x3eaf1d44, v53
	v_dual_fmac_f32 v11, 0xbf708fb2, v54 :: v_dual_fmac_f32 v12, 0xbf708fb2, v55
	s_delay_alu instid0(VALU_DEP_4) | instskip(NEXT) | instid1(VALU_DEP_4)
	v_dual_fmac_f32 v30, 0x3f7c1c5c, v37 :: v_dual_fmac_f32 v29, 0x3f7c1c5c, v38
	v_dual_fmac_f32 v56, 0x3e31d0d4, v44 :: v_dual_fmac_f32 v57, 0x3e31d0d4, v45
	s_delay_alu instid0(VALU_DEP_2) | instskip(NEXT) | instid1(VALU_DEP_2)
	v_dual_sub_f32 v11, v11, v20 :: v_dual_fmac_f32 v30, 0xbf5db3d7, v49
	v_dual_fmac_f32 v29, 0xbf5db3d7, v50 :: v_dual_fmac_f32 v56, -0.5, v48
	s_delay_alu instid0(VALU_DEP_3) | instskip(NEXT) | instid1(VALU_DEP_2)
	v_dual_fmac_f32 v57, -0.5, v51 :: v_dual_add_f32 v12, v19, v12
	v_dual_fmac_f32 v30, 0x3eaf1d44, v31 :: v_dual_fmac_f32 v29, 0x3eaf1d44, v32
	s_delay_alu instid0(VALU_DEP_2) | instskip(SKIP_1) | instid1(VALU_DEP_4)
	v_dual_fmac_f32 v56, 0xbf708fb2, v46 :: v_dual_fmac_f32 v57, 0xbf708fb2, v47
	v_fma_f32 v15, 2.0, v20, v11
	v_fma_f32 v16, -2.0, v19, v12
	v_dual_add_f32 v58, v52, v37 :: v_dual_add_f32 v59, v53, v38
	s_delay_alu instid0(VALU_DEP_4) | instskip(SKIP_1) | instid1(VALU_DEP_3)
	v_dual_sub_f32 v19, v56, v29 :: v_dual_add_f32 v20, v57, v30
	v_dual_add_f32 v56, v46, v44 :: v_dual_add_f32 v57, v47, v45
	v_dual_sub_f32 v58, v58, v31 :: v_dual_sub_f32 v59, v59, v32
	s_delay_alu instid0(VALU_DEP_2) | instskip(NEXT) | instid1(VALU_DEP_3)
	v_dual_mul_f32 v53, 0x3f7c1c5c, v53 :: v_dual_add_f32 v60, v48, v56
	v_add_f32_e32 v61, v51, v57
	v_fma_f32 v29, 2.0, v29, v19
	v_fma_f32 v30, -2.0, v30, v20
	s_mov_b32 s2, exec_lo
	v_add_f32_e32 v60, v9, v60
	v_dual_add_f32 v10, v10, v61 :: v_dual_add_f32 v9, v5, v48
	v_dual_mul_f32 v61, 0x3f5db3d7, v58 :: v_dual_mul_f32 v62, 0x3f5db3d7, v59
	s_delay_alu instid0(VALU_DEP_2) | instskip(SKIP_1) | instid1(VALU_DEP_2)
	v_dual_add_f32 v7, v7, v60 :: v_dual_add_f32 v8, v8, v10
	v_add_f32_e32 v10, v6, v51
	v_dual_mul_f32 v52, 0x3f7c1c5c, v52 :: v_dual_add_f32 v7, v5, v7
	s_delay_alu instid0(VALU_DEP_3) | instskip(SKIP_1) | instid1(VALU_DEP_3)
	v_dual_fmac_f32 v5, 0x3f441b7d, v46 :: v_dual_add_f32 v8, v6, v8
	v_fmac_f32_e32 v6, 0x3f441b7d, v47
	v_fma_f32 v47, 0xbf248dbb, v31, -v52
	v_add_f32_e32 v31, v55, v57
	v_fma_f32 v52, 0xbf248dbb, v32, -v53
	s_delay_alu instid0(VALU_DEP_4) | instskip(NEXT) | instid1(VALU_DEP_4)
	v_dual_fmac_f32 v5, 0x3e31d0d4, v54 :: v_dual_fmac_f32 v6, 0x3e31d0d4, v55
	v_dual_add_f32 v46, v54, v56 :: v_dual_fmac_f32 v47, 0x3f5db3d7, v49
	s_delay_alu instid0(VALU_DEP_2) | instskip(NEXT) | instid1(VALU_DEP_2)
	v_dual_fmac_f32 v52, 0x3f5db3d7, v50 :: v_dual_fmac_f32 v5, -0.5, v48
	v_dual_fmac_f32 v6, -0.5, v51 :: v_dual_fmac_f32 v9, -0.5, v46
	s_delay_alu instid0(VALU_DEP_2) | instskip(NEXT) | instid1(VALU_DEP_2)
	v_dual_fmac_f32 v47, 0x3eaf1d44, v37 :: v_dual_fmac_f32 v52, 0x3eaf1d44, v38
	v_dual_fmac_f32 v5, 0xbf708fb2, v44 :: v_dual_fmac_f32 v6, 0xbf708fb2, v45
	v_fmac_f32_e32 v10, -0.5, v31
	v_mad_u32_u24 v37, 0x3f0, v39, 0
	v_fmac_f32_e32 v9, 0xbf5db3d7, v59
	s_delay_alu instid0(VALU_DEP_4) | instskip(NEXT) | instid1(VALU_DEP_4)
	v_dual_sub_f32 v31, v5, v52 :: v_dual_add_f32 v32, v6, v47
	v_fmac_f32_e32 v10, 0x3f5db3d7, v58
	s_delay_alu instid0(VALU_DEP_4) | instskip(NEXT) | instid1(VALU_DEP_4)
	v_lshl_add_u32 v5, v43, 3, v37
	v_fma_f32 v37, 2.0, v62, v9
	s_delay_alu instid0(VALU_DEP_4)
	v_fma_f32 v44, 2.0, v52, v31
	v_fma_f32 v45, -2.0, v47, v32
	v_fma_f32 v38, -2.0, v61, v10
	ds_store_2addr_b64 v5, v[7:8], v[11:12] offset1:14
	ds_store_2addr_b64 v5, v[19:20], v[9:10] offset0:28 offset1:42
	ds_store_2addr_b64 v5, v[31:32], v[44:45] offset0:56 offset1:70
	;; [unrolled: 1-line block ×3, first 2 shown]
	ds_store_b64 v5, v[15:16] offset:896
	v_cmpx_gt_u32_e32 0x54, v0
	s_cbranch_execz .LBB0_44
; %bb.43:
	v_dual_sub_f32 v19, v21, v25 :: v_dual_add_f32 v16, v18, v36
	v_sub_f32_e32 v20, v13, v33
	v_dual_sub_f32 v29, v17, v35 :: v_dual_add_f32 v30, v22, v26
	s_delay_alu instid0(VALU_DEP_3) | instskip(NEXT) | instid1(VALU_DEP_4)
	v_dual_mul_f32 v6, 0x3f7c1c5c, v19 :: v_dual_add_f32 v37, v14, v34
	v_fmamk_f32 v7, v16, 0x3f441b7d, v4
	v_dual_sub_f32 v31, v23, v27 :: v_dual_add_f32 v32, v24, v28
	s_delay_alu instid0(VALU_DEP_3) | instskip(NEXT) | instid1(VALU_DEP_3)
	v_fma_f32 v6, 0xbf248dbb, v29, -v6
	v_dual_sub_f32 v18, v18, v36 :: v_dual_fmac_f32 v7, 0x3e31d0d4, v30
	v_dual_sub_f32 v36, v22, v26 :: v_dual_add_f32 v35, v17, v35
	s_delay_alu instid0(VALU_DEP_3) | instskip(SKIP_1) | instid1(VALU_DEP_4)
	v_fmac_f32_e32 v6, 0x3f5db3d7, v31
	v_dual_add_f32 v38, v21, v25 :: v_dual_add_f32 v23, v23, v27
	v_fmac_f32_e32 v7, -0.5, v32
	s_delay_alu instid0(VALU_DEP_4) | instskip(NEXT) | instid1(VALU_DEP_4)
	v_dual_fmamk_f32 v10, v35, 0x3f441b7d, v3 :: v_dual_add_f32 v27, v13, v33
	v_fmac_f32_e32 v6, 0x3eaf1d44, v20
	s_delay_alu instid0(VALU_DEP_3) | instskip(SKIP_1) | instid1(VALU_DEP_4)
	v_dual_sub_f32 v24, v24, v28 :: v_dual_fmac_f32 v7, 0xbf708fb2, v37
	v_dual_sub_f32 v14, v14, v34 :: v_dual_add_f32 v15, v19, v20
	v_dual_add_f32 v17, v35, v27 :: v_dual_mul_f32 v8, 0x3f7c1c5c, v36
	s_delay_alu instid0(VALU_DEP_3) | instskip(SKIP_2) | instid1(VALU_DEP_4)
	v_add_f32_e32 v7, v7, v6
	v_fmac_f32_e32 v10, 0x3e31d0d4, v38
	v_add_f32_e32 v12, v16, v37
	v_add_f32_e32 v13, v23, v17
	v_fma_f32 v8, 0xbf248dbb, v18, -v8
	v_fma_f32 v9, -2.0, v6, v7
	v_dual_fmac_f32 v10, -0.5, v23 :: v_dual_add_f32 v11, v4, v32
	v_add_f32_e32 v6, v32, v12
	s_delay_alu instid0(VALU_DEP_4) | instskip(SKIP_1) | instid1(VALU_DEP_4)
	v_fmac_f32_e32 v8, 0x3f5db3d7, v24
	v_fmamk_f32 v28, v38, 0x3f441b7d, v3
	v_dual_fmac_f32 v10, 0xbf708fb2, v27 :: v_dual_add_f32 v17, v38, v17
	s_delay_alu instid0(VALU_DEP_4) | instskip(NEXT) | instid1(VALU_DEP_4)
	v_add_f32_e32 v22, v22, v6
	v_fmac_f32_e32 v8, 0x3eaf1d44, v14
	s_delay_alu instid0(VALU_DEP_4) | instskip(NEXT) | instid1(VALU_DEP_2)
	v_fmac_f32_e32 v28, 0x3e31d0d4, v27
	v_sub_f32_e32 v6, v10, v8
	v_dual_add_f32 v10, v21, v13 :: v_dual_mul_f32 v21, 0xbf248dbb, v19
	v_dual_sub_f32 v13, v15, v29 :: v_dual_add_f32 v12, v30, v12
	s_delay_alu instid0(VALU_DEP_2) | instskip(NEXT) | instid1(VALU_DEP_2)
	v_dual_fmac_f32 v28, -0.5, v23 :: v_dual_fmac_f32 v21, 0x3f7c1c5c, v20
	v_mul_f32_e32 v15, 0x3f5db3d7, v13
	s_delay_alu instid0(VALU_DEP_3) | instskip(SKIP_1) | instid1(VALU_DEP_4)
	v_fmac_f32_e32 v11, -0.5, v12
	v_mul_f32_e32 v20, 0x3f248dbb, v20
	v_dual_fmac_f32 v21, 0xbf5db3d7, v31 :: v_dual_add_f32 v12, v26, v22
	v_add_f32_e32 v10, v25, v10
	v_dual_add_f32 v25, v36, v14 :: v_dual_fmamk_f32 v22, v30, 0x3f441b7d, v4
	v_fmac_f32_e32 v11, 0x3f5db3d7, v13
	s_delay_alu instid0(VALU_DEP_4) | instskip(SKIP_1) | instid1(VALU_DEP_4)
	v_fmac_f32_e32 v21, 0x3eaf1d44, v29
	v_add_f32_e32 v13, v4, v12
	v_sub_f32_e32 v25, v25, v18
	v_add_f32_e32 v12, v3, v10
	v_add_f32_e32 v10, v3, v23
	v_dual_fmac_f32 v4, 0x3f441b7d, v37 :: v_dual_fmac_f32 v3, 0x3f441b7d, v27
	v_fmac_f32_e32 v22, 0x3e31d0d4, v37
	v_fmac_f32_e32 v20, 0x3f7c1c5c, v29
	v_mul_f32_e32 v33, 0x3f5db3d7, v25
	s_delay_alu instid0(VALU_DEP_4) | instskip(NEXT) | instid1(VALU_DEP_4)
	v_dual_fmac_f32 v4, 0x3e31d0d4, v16 :: v_dual_fmac_f32 v3, 0x3e31d0d4, v35
	v_fmac_f32_e32 v22, -0.5, v32
	s_delay_alu instid0(VALU_DEP_4) | instskip(SKIP_1) | instid1(VALU_DEP_4)
	v_fmac_f32_e32 v20, 0x3f5db3d7, v31
	v_fma_f32 v8, 2.0, v8, v6
	v_dual_fmac_f32 v4, -0.5, v32 :: v_dual_fmac_f32 v3, -0.5, v23
	s_delay_alu instid0(VALU_DEP_4) | instskip(SKIP_2) | instid1(VALU_DEP_4)
	v_fmac_f32_e32 v22, 0xbf708fb2, v16
	v_mul_f32_e32 v26, 0xbf248dbb, v36
	v_add_nc_u32_e32 v23, 0x4000, v5
	v_dual_fmac_f32 v28, 0xbf708fb2, v35 :: v_dual_fmac_f32 v3, 0xbf708fb2, v38
	v_fmac_f32_e32 v10, -0.5, v17
	v_dual_add_f32 v17, v22, v21 :: v_dual_mul_f32 v22, 0x3f248dbb, v14
	v_fmac_f32_e32 v26, 0x3f7c1c5c, v14
	v_fmac_f32_e32 v20, 0x3eaf1d44, v19
	v_fma_f32 v15, -2.0, v15, v11
	s_delay_alu instid0(VALU_DEP_4) | instskip(SKIP_2) | instid1(VALU_DEP_2)
	v_fma_f32 v19, -2.0, v21, v17
	v_fmac_f32_e32 v22, 0x3f7c1c5c, v18
	v_fmac_f32_e32 v26, 0xbf5db3d7, v24
	;; [unrolled: 1-line block ×3, first 2 shown]
	s_delay_alu instid0(VALU_DEP_2) | instskip(SKIP_1) | instid1(VALU_DEP_3)
	v_fmac_f32_e32 v26, 0x3eaf1d44, v18
	v_add_nc_u32_e32 v24, 0x4400, v5
	v_fmac_f32_e32 v22, 0x3eaf1d44, v36
	s_delay_alu instid0(VALU_DEP_3) | instskip(NEXT) | instid1(VALU_DEP_2)
	v_sub_f32_e32 v16, v28, v26
	v_dual_sub_f32 v3, v3, v22 :: v_dual_fmac_f32 v10, 0xbf5db3d7, v25
	v_add_nc_u32_e32 v25, 0x4800, v5
	v_fmac_f32_e32 v4, 0xbf708fb2, v30
	s_delay_alu instid0(VALU_DEP_4) | instskip(NEXT) | instid1(VALU_DEP_4)
	v_fma_f32 v18, 2.0, v26, v16
	v_fma_f32 v14, 2.0, v33, v10
	s_delay_alu instid0(VALU_DEP_3) | instskip(NEXT) | instid1(VALU_DEP_1)
	v_add_f32_e32 v4, v20, v4
	v_fma_f32 v21, -2.0, v20, v4
	v_fma_f32 v20, 2.0, v22, v3
	ds_store_2addr_b64 v23, v[12:13], v[3:4] offset0:220 offset1:234
	ds_store_2addr_b64 v24, v[16:17], v[10:11] offset0:120 offset1:134
	;; [unrolled: 1-line block ×4, first 2 shown]
	ds_store_b64 v5, v[20:21] offset:19040
.LBB0_44:
	s_wait_alu 0xfffe
	s_or_b32 exec_lo, exec_lo, s2
	v_mul_lo_u16 v3, v39, 29
	v_subrev_nc_u32_e32 v11, 54, v39
	v_cmp_gt_u32_e32 vcc_lo, 0x2f4, v0
	global_wb scope:SCOPE_SE
	s_wait_dscnt 0x0
	s_wait_kmcnt 0x0
	s_barrier_signal -1
	v_lshrrev_b16 v13, 8, v3
	v_mul_lo_u16 v3, v41, 57
	s_barrier_wait -1
	global_inv scope:SCOPE_SE
	v_mul_lo_u16 v8, v40, 19
	v_mul_lo_u16 v4, v13, 9
	v_lshrrev_b16 v35, 9, v3
	v_mul_lo_u16 v9, v42, 19
	v_subrev_nc_u32_e32 v12, 36, v39
	v_lshrrev_b16 v71, 10, v8
	v_sub_nc_u16 v3, v39, v4
	v_mul_lo_u16 v4, v35, 9
	v_lshrrev_b16 v72, 10, v9
	v_cmp_gt_u32_e64 s2, 0x1f8, v0
	s_delay_alu instid0(VALU_DEP_4) | instskip(NEXT) | instid1(VALU_DEP_4)
	v_and_b32_e32 v69, 0xff, v3
	v_sub_nc_u16 v3, v41, v4
	s_delay_alu instid0(VALU_DEP_4)
	v_mul_lo_u16 v76, v72, 54
	s_wait_alu 0xf1ff
	v_cndmask_b32_e64 v63, v12, v41, s2
	v_mul_u32_u24_e32 v4, 5, v69
	v_and_b32_e32 v70, 0xff, v3
	v_sub_nc_u16 v76, v42, v76
	s_delay_alu instid0(VALU_DEP_3) | instskip(NEXT) | instid1(VALU_DEP_3)
	v_lshlrev_b32_e32 v3, 3, v4
	v_mul_u32_u24_e32 v4, 5, v70
	s_clause 0x1
	global_load_b128 v[15:18], v3, s[10:11]
	global_load_b128 v[19:22], v3, s[10:11] offset:16
	v_lshlrev_b32_e32 v4, 3, v4
	v_lshlrev_b32_e32 v14, 3, v43
	v_add_nc_u32_e32 v5, 36, v39
	s_clause 0x3
	global_load_b64 v[59:60], v3, s[10:11] offset:32
	global_load_b128 v[23:26], v4, s[10:11]
	global_load_b128 v[27:30], v4, s[10:11] offset:16
	global_load_b64 v[61:62], v4, s[10:11] offset:32
	v_mul_u32_u24_e32 v3, 0x70, v39
	v_add_nc_u32_e32 v6, 54, v39
	v_mul_lo_u16 v36, v5, 19
	v_dual_mov_b32 v4, 0 :: v_dual_and_b32 v73, 0xffff, v35
	s_delay_alu instid0(VALU_DEP_4) | instskip(NEXT) | instid1(VALU_DEP_4)
	v_add3_u32 v7, 0, v3, v14
	v_mul_lo_u16 v37, v6, 19
	s_delay_alu instid0(VALU_DEP_4)
	v_lshrrev_b16 v74, 10, v36
	s_wait_alu 0xfffd
	v_dual_cndmask_b32 v3, v11, v39 :: v_dual_mov_b32 v64, v4
	v_add_nc_u32_e32 v38, 0xfc0, v7
	v_add_nc_u32_e32 v43, 0x1f80, v7
	;; [unrolled: 1-line block ×5, first 2 shown]
	ds_load_2addr_b64 v[31:34], v7 offset1:252
	v_lshrrev_b16 v75, 10, v37
	ds_load_2addr_b64 v[35:38], v38 offset1:252
	ds_load_2addr_b64 v[43:46], v43 offset1:252
	;; [unrolled: 1-line block ×5, first 2 shown]
	v_lshlrev_b64_e32 v[65:66], 3, v[3:4]
	v_and_b32_e32 v13, 0xffff, v13
	v_lshlrev_b64_e32 v[67:68], 3, v[63:64]
	v_mul_lo_u16 v64, v71, 54
	v_mul_lo_u16 v77, v74, 54
	;; [unrolled: 1-line block ×3, first 2 shown]
	global_wb scope:SCOPE_SE
	s_wait_loadcnt_dscnt 0x0
	s_barrier_signal -1
	v_sub_nc_u16 v79, v40, v64
	v_add_co_u32 v64, s3, s10, v65
	s_wait_alu 0xf1ff
	v_add_co_ci_u32_e64 v65, s3, s11, v66, s3
	v_add_co_u32 v66, s3, s10, v67
	s_wait_alu 0xf1ff
	v_add_co_ci_u32_e64 v67, s3, s11, v68, s3
	s_barrier_wait -1
	global_inv scope:SCOPE_SE
	v_cmp_lt_u32_e64 s3, 0x2f3, v0
	v_mul_f32_e32 v82, v16, v36
	v_mul_f32_e32 v16, v16, v35
	v_mad_u32_u24 v13, v13, 54, v69
	v_mul_f32_e32 v83, v18, v44
	v_mul_f32_e32 v86, v56, v60
	;; [unrolled: 1-line block ×3, first 2 shown]
	v_mad_u32_u24 v70, v73, 54, v70
	v_sub_nc_u16 v68, v5, v77
	v_mul_u32_u24_e32 v13, 0x70, v13
	v_dual_mul_f32 v18, v18, v43 :: v_dual_and_b32 v73, 0xff, v76
	s_delay_alu instid0(VALU_DEP_4) | instskip(NEXT) | instid1(VALU_DEP_4)
	v_mul_u32_u24_e32 v70, 0x70, v70
	v_dual_fmac_f32 v83, v17, v43 :: v_dual_and_b32 v68, 0xff, v68
	v_mul_f32_e32 v85, v22, v52
	v_add3_u32 v13, 0, v13, v14
	s_delay_alu instid0(VALU_DEP_4)
	v_add3_u32 v70, 0, v70, v14
	v_mul_f32_e32 v87, v38, v24
	v_sub_nc_u16 v77, v6, v78
	v_and_b32_e32 v69, 0xff, v79
	v_dual_mul_f32 v22, v22, v51 :: v_dual_add_nc_u32 v79, 0xc00, v13
	v_dual_fmac_f32 v82, v15, v35 :: v_dual_add_nc_u32 v81, 0xc00, v70
	s_delay_alu instid0(VALU_DEP_4)
	v_dual_fmac_f32 v85, v21, v51 :: v_dual_and_b32 v76, 0xff, v77
	v_lshlrev_b32_e32 v77, 3, v68
	v_mul_f32_e32 v84, v20, v48
	v_mul_f32_e32 v20, v20, v47
	v_fma_f32 v35, v15, v36, -v16
	v_fma_f32 v15, v17, v44, -v18
	v_dual_mul_f32 v17, v46, v26 :: v_dual_add_nc_u32 v78, 0x400, v13
	v_fmac_f32_e32 v87, v37, v23
	v_mul_f32_e32 v16, v37, v24
	v_dual_mul_f32 v24, v50, v28 :: v_dual_sub_f32 v37, v83, v85
	s_delay_alu instid0(VALU_DEP_4) | instskip(SKIP_4) | instid1(VALU_DEP_4)
	v_dual_fmac_f32 v17, v45, v25 :: v_dual_fmac_f32 v84, v19, v47
	v_fma_f32 v19, v19, v48, -v20
	v_fma_f32 v20, v21, v52, -v22
	v_mul_f32_e32 v18, v45, v26
	v_mul_f32_e32 v22, v54, v30
	v_dual_mul_f32 v26, v53, v30 :: v_dual_add_f32 v45, v35, v19
	v_fma_f32 v30, v56, v59, -v60
	v_mul_f32_e32 v21, v49, v28
	s_delay_alu instid0(VALU_DEP_4) | instskip(SKIP_1) | instid1(VALU_DEP_4)
	v_fmac_f32_e32 v22, v53, v29
	v_dual_add_f32 v47, v33, v17 :: v_dual_add_nc_u32 v80, 0x400, v70
	v_sub_f32_e32 v44, v19, v30
	v_add_f32_e32 v19, v19, v30
	s_delay_alu instid0(VALU_DEP_4) | instskip(SKIP_3) | instid1(VALU_DEP_4)
	v_dual_fmac_f32 v86, v55, v59 :: v_dual_sub_f32 v51, v17, v22
	v_fmac_f32_e32 v24, v49, v27
	v_fma_f32 v23, v38, v23, -v16
	v_fma_f32 v16, v46, v25, -v18
	v_add_f32_e32 v43, v84, v86
	v_mul_f32_e32 v36, v57, v62
	v_fma_f32 v18, v50, v27, -v21
	v_fma_f32 v21, v54, v29, -v26
	v_dual_mul_f32 v28, v58, v62 :: v_dual_add_f32 v27, v83, v85
	v_sub_f32_e32 v29, v15, v20
	v_dual_add_f32 v38, v82, v84 :: v_dual_fmac_f32 v35, -0.5, v19
	v_dual_add_f32 v48, v17, v22 :: v_dual_add_f32 v17, v87, v24
	v_fma_f32 v25, v58, v61, -v36
	v_dual_add_f32 v26, v31, v83 :: v_dual_sub_f32 v49, v16, v21
	v_fmac_f32_e32 v28, v57, v61
	v_fma_f32 v31, -0.5, v27, v31
	v_dual_add_f32 v27, v38, v86 :: v_dual_add_f32 v36, v32, v15
	v_add_f32_e32 v15, v15, v20
	v_dual_sub_f32 v53, v18, v25 :: v_dual_fmac_f32 v82, -0.5, v43
	v_add_f32_e32 v54, v23, v18
	v_add_f32_e32 v18, v18, v25
	v_sub_f32_e32 v46, v84, v86
	v_add_f32_e32 v50, v34, v16
	v_fma_f32 v32, -0.5, v15, v32
	v_add_f32_e32 v25, v54, v25
	v_dual_fmac_f32 v23, -0.5, v18 :: v_dual_add_f32 v52, v24, v28
	v_add_f32_e32 v26, v26, v85
	v_sub_f32_e32 v24, v24, v28
	v_add_f32_e32 v16, v16, v21
	v_add_f32_e32 v20, v36, v20
	v_fmamk_f32 v38, v37, 0x3f5db3d7, v32
	v_fmac_f32_e32 v32, 0xbf5db3d7, v37
	v_fmamk_f32 v37, v46, 0x3f5db3d7, v35
	v_dual_fmac_f32 v35, 0xbf5db3d7, v46 :: v_dual_add_f32 v36, v50, v21
	v_add_f32_e32 v21, v17, v28
	v_fmac_f32_e32 v87, -0.5, v52
	v_dual_add_f32 v15, v26, v27 :: v_dual_add_f32 v22, v47, v22
	v_sub_f32_e32 v17, v26, v27
	v_fmamk_f32 v27, v24, 0x3f5db3d7, v23
	v_fmac_f32_e32 v23, 0xbf5db3d7, v24
	v_fmamk_f32 v28, v29, 0xbf5db3d7, v31
	v_fmac_f32_e32 v31, 0x3f5db3d7, v29
	v_fma_f32 v33, -0.5, v48, v33
	v_add_f32_e32 v30, v45, v30
	v_dual_fmac_f32 v34, -0.5, v16 :: v_dual_add_f32 v19, v22, v21
	v_sub_f32_e32 v21, v22, v21
	s_delay_alu instid0(VALU_DEP_4)
	v_fmamk_f32 v43, v49, 0xbf5db3d7, v33
	v_fmamk_f32 v26, v53, 0xbf5db3d7, v87
	v_fmac_f32_e32 v87, 0x3f5db3d7, v53
	v_mul_f32_e32 v46, 0xbf5db3d7, v23
	v_dual_sub_f32 v18, v20, v30 :: v_dual_fmac_f32 v33, 0x3f5db3d7, v49
	v_fmamk_f32 v29, v44, 0xbf5db3d7, v82
	v_add_f32_e32 v16, v20, v30
	s_delay_alu instid0(VALU_DEP_4) | instskip(SKIP_4) | instid1(VALU_DEP_4)
	v_fmac_f32_e32 v46, -0.5, v87
	v_mul_f32_e32 v30, 0xbf5db3d7, v37
	v_mul_f32_e32 v37, 0.5, v37
	v_mul_f32_e32 v45, 0xbf5db3d7, v27
	v_dual_fmac_f32 v82, 0x3f5db3d7, v44 :: v_dual_mul_f32 v47, 0.5, v27
	v_fmac_f32_e32 v30, 0.5, v29
	v_sub_f32_e32 v22, v36, v25
	v_dual_mul_f32 v48, -0.5, v23 :: v_dual_fmac_f32 v37, 0x3f5db3d7, v29
	s_delay_alu instid0(VALU_DEP_3) | instskip(SKIP_4) | instid1(VALU_DEP_3)
	v_add_f32_e32 v23, v28, v30
	v_dual_add_f32 v20, v36, v25 :: v_dual_fmac_f32 v47, 0x3f5db3d7, v26
	v_dual_mul_f32 v36, 0xbf5db3d7, v35 :: v_dual_sub_f32 v27, v28, v30
	v_dual_mul_f32 v35, -0.5, v35 :: v_dual_fmamk_f32 v44, v51, 0x3f5db3d7, v34
	v_dual_fmac_f32 v34, 0xbf5db3d7, v51 :: v_dual_fmac_f32 v45, 0.5, v26
	v_fmac_f32_e32 v36, -0.5, v82
	s_delay_alu instid0(VALU_DEP_3) | instskip(SKIP_1) | instid1(VALU_DEP_4)
	v_dual_fmac_f32 v35, 0x3f5db3d7, v82 :: v_dual_add_f32 v24, v38, v37
	v_sub_f32_e32 v28, v38, v37
	v_dual_sub_f32 v37, v43, v45 :: v_dual_fmac_f32 v48, 0x3f5db3d7, v87
	s_delay_alu instid0(VALU_DEP_3) | instskip(SKIP_2) | instid1(VALU_DEP_4)
	v_dual_add_f32 v25, v31, v36 :: v_dual_add_f32 v26, v32, v35
	v_dual_sub_f32 v29, v31, v36 :: v_dual_sub_f32 v30, v32, v35
	v_dual_add_f32 v31, v43, v45 :: v_dual_add_f32 v32, v44, v47
	v_dual_add_f32 v35, v33, v46 :: v_dual_add_f32 v36, v34, v48
	v_dual_sub_f32 v33, v33, v46 :: v_dual_sub_f32 v38, v44, v47
	v_sub_f32_e32 v34, v34, v48
	ds_store_2addr_b64 v13, v[15:16], v[23:24] offset1:126
	ds_store_2addr_b64 v78, v[25:26], v[17:18] offset0:124 offset1:250
	ds_store_2addr_b64 v79, v[27:28], v[29:30] offset0:120 offset1:246
	ds_store_2addr_b64 v70, v[19:20], v[31:32] offset1:126
	ds_store_2addr_b64 v80, v[35:36], v[21:22] offset0:124 offset1:250
	ds_store_2addr_b64 v81, v[37:38], v[33:34] offset0:120 offset1:246
	v_lshlrev_b32_e32 v13, 3, v76
	v_lshlrev_b32_e32 v15, 3, v69
	global_wb scope:SCOPE_SE
	s_wait_dscnt 0x0
	s_barrier_signal -1
	s_barrier_wait -1
	global_inv scope:SCOPE_SE
	s_clause 0x2
	global_load_b64 v[31:32], v[64:65], off offset:360
	global_load_b64 v[33:34], v[66:67], off offset:360
	global_load_b64 v[35:36], v77, s[10:11] offset:360
	v_lshlrev_b32_e32 v16, 3, v73
	s_clause 0x2
	global_load_b64 v[37:38], v13, s[10:11] offset:360
	global_load_b64 v[43:44], v15, s[10:11] offset:360
	global_load_b64 v[45:46], v16, s[10:11] offset:360
	s_wait_alu 0xf1ff
	v_cndmask_b32_e64 v13, 0, 0x6c, s3
	v_mul_u32_u24_e32 v16, 0x70, v6
	v_cmp_lt_u32_e64 s3, 0x1f7, v0
	v_and_b32_e32 v17, 0xffff, v72
	v_and_b32_e32 v19, 0xffff, v75
	v_add_nc_u32_e32 v3, v3, v13
	v_add3_u32 v13, 0, v16, v14
	v_and_b32_e32 v16, 0xffff, v71
	s_wait_alu 0xf1ff
	v_cndmask_b32_e64 v15, 0, 0x6c, s3
	v_mad_u32_u24 v21, 0x6c, v17, v73
	v_and_b32_e32 v18, 0xffff, v74
	v_mad_u32_u24 v23, 0x6c, v19, v76
	v_mad_u32_u24 v20, 0x6c, v16, v69
	v_add_nc_u32_e32 v15, v63, v15
	v_mul_u32_u24_e32 v25, 0x70, v21
	v_mad_u32_u24 v22, 0x6c, v18, v68
	v_mul_u32_u24_e32 v28, 0x70, v23
	v_mul_u32_u24_e32 v24, 0x70, v20
	v_mul_i32_i24_e32 v15, 0x70, v15
	v_add3_u32 v57, 0, v25, v14
	v_mul_u32_u24_e32 v27, 0x70, v22
	ds_load_2addr_b64 v[19:22], v8 offset1:252
	v_add3_u32 v56, 0, v24, v14
	ds_load_2addr_b64 v[23:26], v9 offset1:252
	v_add3_u32 v55, 0, v15, v14
	;; [unrolled: 2-line block ×3, first 2 shown]
	v_add3_u32 v59, 0, v28, v14
	ds_load_2addr_b64 v[27:30], v7 offset1:252
	ds_load_b64 v[47:48], v7 offset:4032
	ds_load_b64 v[49:50], v13 offset:4032
	ds_load_b64 v[51:52], v13
	ds_load_b64 v[53:54], v7 offset:8064
	v_mul_i32_i24_e32 v3, 0x70, v3
	global_wb scope:SCOPE_SE
	s_wait_loadcnt_dscnt 0x0
	s_barrier_signal -1
	s_barrier_wait -1
	global_inv scope:SCOPE_SE
	v_add3_u32 v3, 0, v3, v14
	v_mul_f32_e32 v61, v36, v20
	v_mul_f32_e32 v36, v36, v19
	v_dual_mul_f32 v62, v38, v22 :: v_dual_mul_f32 v63, v44, v24
	v_mul_f32_e32 v44, v44, v23
	s_delay_alu instid0(VALU_DEP_4) | instskip(NEXT) | instid1(VALU_DEP_4)
	v_fmac_f32_e32 v61, v35, v19
	v_fma_f32 v19, v35, v20, -v36
	s_delay_alu instid0(VALU_DEP_4) | instskip(NEXT) | instid1(VALU_DEP_4)
	v_dual_mul_f32 v60, v34, v18 :: v_dual_fmac_f32 v63, v43, v23
	v_fma_f32 v23, v43, v24, -v44
	v_mul_f32_e32 v14, v32, v16
	v_mul_f32_e32 v32, v32, v15
	;; [unrolled: 1-line block ×4, first 2 shown]
	v_sub_f32_e32 v23, v54, v23
	v_mul_f32_e32 v64, v26, v46
	v_mul_f32_e32 v46, v25, v46
	v_fmac_f32_e32 v14, v31, v15
	v_fma_f32 v15, v31, v16, -v32
	v_dual_sub_f32 v19, v48, v19 :: v_dual_fmac_f32 v60, v33, v17
	v_fma_f32 v17, v33, v18, -v34
	v_fmac_f32_e32 v62, v37, v21
	v_fma_f32 v21, v37, v22, -v38
	v_fmac_f32_e32 v64, v25, v45
	v_fma_f32 v25, v26, v45, -v46
	v_dual_sub_f32 v14, v27, v14 :: v_dual_sub_f32 v15, v28, v15
	v_dual_sub_f32 v16, v29, v60 :: v_dual_sub_f32 v17, v30, v17
	v_sub_f32_e32 v18, v47, v61
	v_dual_sub_f32 v20, v51, v62 :: v_dual_sub_f32 v21, v52, v21
	v_sub_f32_e32 v22, v53, v63
	v_dual_sub_f32 v24, v49, v64 :: v_dual_sub_f32 v25, v50, v25
	v_fma_f32 v26, v27, 2.0, -v14
	v_fma_f32 v27, v28, 2.0, -v15
	;; [unrolled: 1-line block ×12, first 2 shown]
	ds_store_b64 v3, v[26:27]
	ds_store_b64 v3, v[14:15] offset:6048
	ds_store_b64 v55, v[28:29]
	ds_store_b64 v55, v[16:17] offset:6048
	;; [unrolled: 2-line block ×6, first 2 shown]
	global_wb scope:SCOPE_SE
	s_wait_dscnt 0x0
	s_barrier_signal -1
	s_barrier_wait -1
	global_inv scope:SCOPE_SE
	s_and_saveexec_b32 s3, s7
	s_cbranch_execz .LBB0_46
; %bb.45:
	v_dual_cndmask_b32 v20, v11, v6 :: v_dual_lshlrev_b32 v3, 3, v39
	v_subrev_nc_u32_e32 v14, 18, v39
	v_cmp_gt_u32_e32 vcc_lo, 0xfc, v0
	v_cndmask_b32_e64 v18, v12, v40, s2
	v_dual_mov_b32 v19, v4 :: v_dual_add_nc_u32 v16, 0xffffffb8, v39
	s_clause 0x1
	global_load_b64 v[22:23], v3, s[10:11] offset:936
	global_load_b64 v[26:27], v3, s[10:11] offset:792
	s_wait_alu 0xfffd
	v_cndmask_b32_e32 v3, v14, v42, vcc_lo
	v_cmp_gt_u32_e32 vcc_lo, 0x3f0, v0
	v_lshlrev_b64_e32 v[11:12], 3, v[18:19]
	v_dual_mov_b32 v21, v4 :: v_dual_add_nc_u32 v38, 0x7e, v39
	v_mov_b32_e32 v25, v4
	s_wait_alu 0xfffd
	v_cndmask_b32_e32 v24, v16, v5, vcc_lo
	v_lshlrev_b64_e32 v[16:17], 3, v[3:4]
	v_add_co_u32 v11, vcc_lo, s10, v11
	s_wait_alu 0xfffd
	v_add_co_ci_u32_e32 v12, vcc_lo, s11, v12, vcc_lo
	v_lshlrev_b64_e32 v[14:15], 3, v[20:21]
	s_delay_alu instid0(VALU_DEP_4)
	v_add_co_u32 v16, vcc_lo, s10, v16
	s_wait_alu 0xfffd
	v_add_co_ci_u32_e32 v17, vcc_lo, s11, v17, vcc_lo
	global_load_b64 v[28:29], v[11:12], off offset:792
	s_load_b64 s[0:1], s[0:1], 0x8
	v_mul_lo_u32 v0, v2, v38
	global_load_b64 v[30:31], v[16:17], off offset:792
	v_add_co_u32 v11, vcc_lo, s10, v14
	s_wait_alu 0xfffd
	v_add_co_ci_u32_e32 v12, vcc_lo, s11, v15, vcc_lo
	v_lshlrev_b64_e32 v[14:15], 3, v[24:25]
	v_add_nc_u32_e32 v19, 0x6c, v39
	v_mul_lo_u32 v16, v2, v3
	global_load_b64 v[32:33], v[11:12], off offset:792
	v_add_nc_u32_e32 v17, 0x6c, v24
	v_mul_lo_u32 v21, v2, v24
	v_add_co_u32 v11, vcc_lo, s10, v14
	s_wait_alu 0xfffd
	v_add_co_ci_u32_e32 v12, vcc_lo, s11, v15, vcc_lo
	v_mul_lo_u32 v15, v2, v39
	global_load_b64 v[34:35], v[11:12], off offset:792
	v_and_b32_e32 v11, 0xff, v0
	v_lshrrev_b32_e32 v0, 5, v0
	s_delay_alu instid0(VALU_DEP_2) | instskip(NEXT) | instid1(VALU_DEP_2)
	v_lshlrev_b32_e32 v11, 3, v11
	v_and_b32_e32 v0, 0x7f8, v0
	s_wait_kmcnt 0x0
	s_clause 0x1
	global_load_b64 v[36:37], v11, s[0:1]
	global_load_b64 v[43:44], v0, s[0:1] offset:2048
	v_mul_lo_u32 v0, v2, v41
	v_mul_lo_u32 v11, v2, v19
	s_delay_alu instid0(VALU_DEP_2) | instskip(SKIP_1) | instid1(VALU_DEP_3)
	v_and_b32_e32 v12, 0xff, v0
	v_lshrrev_b32_e32 v0, 5, v0
	v_and_b32_e32 v14, 0xff, v11
	v_lshrrev_b32_e32 v11, 5, v11
	s_delay_alu instid0(VALU_DEP_4) | instskip(NEXT) | instid1(VALU_DEP_4)
	v_lshlrev_b32_e32 v12, 3, v12
	v_and_b32_e32 v0, 0x7f8, v0
	s_clause 0x1
	global_load_b64 v[45:46], v12, s[0:1]
	global_load_b64 v[47:48], v0, s[0:1] offset:2048
	v_lshlrev_b32_e32 v0, 3, v14
	v_and_b32_e32 v11, 0x7f8, v11
	s_clause 0x1
	global_load_b64 v[49:50], v0, s[0:1]
	global_load_b64 v[51:52], v11, s[0:1] offset:2048
	v_and_b32_e32 v0, 0xff, v15
	v_lshrrev_b32_e32 v11, 5, v15
	v_add_nc_u32_e32 v12, 0x6c, v20
	v_mul_lo_u32 v14, v2, v20
	v_add_nc_u32_e32 v15, 0x6c, v3
	v_lshlrev_b32_e32 v0, 3, v0
	v_and_b32_e32 v11, 0x7f8, v11
	s_clause 0x1
	global_load_b64 v[53:54], v0, s[0:1]
	global_load_b64 v[55:56], v11, s[0:1] offset:2048
	v_add_nc_u32_e32 v0, 0x6c, v18
	v_mul_lo_u32 v11, v2, v18
	v_mul_lo_u32 v12, v2, v12
	v_and_b32_e32 v57, 0xff, v14
	v_mul_lo_u32 v15, v2, v15
	v_mul_lo_u32 v0, v2, v0
	v_lshrrev_b32_e32 v14, 5, v14
	v_mul_lo_u32 v2, v2, v17
	v_lshlrev_b32_e32 v69, 3, v57
	v_and_b32_e32 v25, 0xff, v11
	v_lshrrev_b32_e32 v11, 5, v11
	v_and_b32_e32 v61, 0xff, v12
	v_lshrrev_b32_e32 v12, 5, v12
	;; [unrolled: 2-line block ×3, first 2 shown]
	v_lshlrev_b32_e32 v25, 3, v25
	v_and_b32_e32 v11, 0x7f8, v11
	v_and_b32_e32 v12, 0x7f8, v12
	v_lshlrev_b32_e32 v58, 3, v58
	v_and_b32_e32 v0, 0x7f8, v0
	s_clause 0x1
	global_load_b64 v[57:58], v58, s[0:1]
	global_load_b64 v[59:60], v0, s[0:1] offset:2048
	v_lshlrev_b32_e32 v0, 3, v61
	s_clause 0x1
	global_load_b64 v[61:62], v25, s[0:1]
	global_load_b64 v[63:64], v11, s[0:1] offset:2048
	v_and_b32_e32 v11, 0x7f8, v14
	v_and_b32_e32 v17, 0xff, v16
	s_clause 0x3
	global_load_b64 v[65:66], v0, s[0:1]
	global_load_b64 v[67:68], v12, s[0:1] offset:2048
	global_load_b64 v[69:70], v69, s[0:1]
	global_load_b64 v[71:72], v11, s[0:1] offset:2048
	v_and_b32_e32 v0, 0xff, v15
	v_lshrrev_b32_e32 v11, 5, v15
	v_lshrrev_b32_e32 v16, 5, v16
	v_lshlrev_b32_e32 v15, 3, v17
	v_and_b32_e32 v17, 0xff, v2
	v_lshlrev_b32_e32 v0, 3, v0
	v_lshrrev_b32_e32 v2, 5, v2
	v_and_b32_e32 v14, 0xff, v21
	v_and_b32_e32 v11, 0x7f8, v11
	v_lshrrev_b32_e32 v12, 5, v21
	v_and_b32_e32 v16, 0x7f8, v16
	v_lshlrev_b32_e32 v17, 3, v17
	s_clause 0x3
	global_load_b64 v[73:74], v0, s[0:1]
	global_load_b64 v[75:76], v11, s[0:1] offset:2048
	global_load_b64 v[77:78], v15, s[0:1]
	global_load_b64 v[79:80], v16, s[0:1] offset:2048
	v_and_b32_e32 v0, 0x7f8, v2
	v_lshlrev_b32_e32 v2, 3, v14
	v_and_b32_e32 v11, 0x7f8, v12
	s_clause 0x3
	global_load_b64 v[81:82], v17, s[0:1]
	global_load_b64 v[83:84], v0, s[0:1] offset:2048
	global_load_b64 v[85:86], v2, s[0:1]
	global_load_b64 v[87:88], v11, s[0:1] offset:2048
	ds_load_2addr_b64 v[14:17], v10 offset1:252
	ds_load_2addr_b64 v[9:12], v9 offset1:252
	v_sub_nc_u32_e32 v18, v40, v18
	v_sub_nc_u32_e32 v3, v42, v3
	s_delay_alu instid0(VALU_DEP_1)
	v_add_nc_u32_e32 v3, v3, v42
	s_wait_loadcnt_dscnt 0x1d01
	v_mul_f32_e32 v0, v23, v16
	v_mul_f32_e32 v89, v23, v17
	s_wait_loadcnt 0x1c
	v_mul_f32_e32 v2, v27, v14
	v_mul_f32_e32 v91, v27, v15
	v_fma_f32 v90, v22, v17, -v0
	v_fmac_f32_e32 v89, v22, v16
	s_delay_alu instid0(VALU_DEP_4) | instskip(NEXT) | instid1(VALU_DEP_4)
	v_fma_f32 v92, v26, v15, -v2
	v_fmac_f32_e32 v91, v26, v14
	ds_load_2addr_b64 v[14:17], v8 offset1:252
	v_add_nc_u32_e32 v8, 0xfc0, v13
	v_add_nc_u32_e32 v22, 0x1f80, v7
	s_wait_loadcnt_dscnt 0x1b01
	v_dual_mul_f32 v0, v29, v9 :: v_dual_add_nc_u32 v21, 0xfc0, v7
	v_mul_f32_e32 v93, v29, v10
	v_sub_nc_u32_e32 v29, v5, v24
	s_wait_loadcnt 0x1a
	v_mul_f32_e32 v2, v11, v31
	v_mul_f32_e32 v94, v12, v31
	v_fma_f32 v95, v28, v10, -v0
	v_fmac_f32_e32 v93, v28, v9
	v_add_nc_u32_e32 v0, s6, v1
	v_fma_f32 v96, v12, v30, -v2
	v_fmac_f32_e32 v94, v11, v30
	v_add_nc_u32_e32 v10, 0x7e0, v7
	s_wait_loadcnt_dscnt 0x1900
	v_mul_f32_e32 v2, v33, v16
	v_mul_f32_e32 v97, v33, v17
	s_delay_alu instid0(VALU_DEP_2)
	v_fma_f32 v98, v32, v17, -v2
	ds_load_b64 v[1:2], v8
	ds_load_b64 v[8:9], v13
	v_dual_fmac_f32 v97, v32, v16 :: v_dual_add_nc_u32 v32, v29, v5
	s_wait_loadcnt 0x18
	v_mul_f32_e32 v11, v35, v14
	v_mul_f32_e32 v99, v35, v15
	s_delay_alu instid0(VALU_DEP_2) | instskip(NEXT) | instid1(VALU_DEP_2)
	v_fma_f32 v100, v34, v15, -v11
	v_fmac_f32_e32 v99, v34, v14
	ds_load_b64 v[10:11], v10
	ds_load_b64 v[12:13], v22
	;; [unrolled: 1-line block ×4, first 2 shown]
	v_sub_nc_u32_e32 v7, v6, v20
	v_add_nc_u32_e32 v31, v18, v40
	s_delay_alu instid0(VALU_DEP_2)
	v_add_nc_u32_e32 v30, v7, v6
	s_wait_dscnt 0x5
	v_mad_co_u64_u32 v[21:22], null, s8, v39, v[0:1]
	v_mov_b32_e32 v22, v4
	v_mad_co_u64_u32 v[25:26], null, s8, v19, v[0:1]
	v_mad_co_u64_u32 v[19:20], null, s8, v41, v[0:1]
	v_mov_b32_e32 v26, v4
	s_delay_alu instid0(VALU_DEP_4) | instskip(SKIP_2) | instid1(VALU_DEP_4)
	v_lshlrev_b64_e32 v[6:7], 3, v[21:22]
	v_mad_co_u64_u32 v[27:28], null, s8, v38, v[0:1]
	v_mov_b32_e32 v20, v4
	v_lshlrev_b64_e32 v[21:22], 3, v[25:26]
	v_mov_b32_e32 v28, v4
	v_add_co_u32 v5, vcc_lo, s4, v6
	s_wait_alu 0xfffd
	v_add_co_ci_u32_e32 v6, vcc_lo, s5, v7, vcc_lo
	s_wait_loadcnt 0x14
	v_mul_f32_e32 v7, v46, v48
	v_lshlrev_b64_e32 v[18:19], 3, v[19:20]
	v_mul_f32_e32 v25, v37, v44
	v_lshlrev_b64_e32 v[23:24], 3, v[27:28]
	v_add_co_u32 v20, vcc_lo, s4, v21
	v_fma_f32 v41, v45, v47, -v7
	s_wait_loadcnt 0x12
	v_mul_f32_e32 v7, v50, v52
	v_mul_f32_e32 v39, v49, v52
	s_wait_alu 0xfffd
	v_add_co_ci_u32_e32 v21, vcc_lo, s5, v22, vcc_lo
	v_mul_f32_e32 v38, v36, v44
	v_add_co_u32 v18, vcc_lo, s4, v18
	v_fma_f32 v40, v36, v43, -v25
	s_wait_alu 0xfffd
	v_add_co_ci_u32_e32 v19, vcc_lo, s5, v19, vcc_lo
	v_fma_f32 v42, v49, v51, -v7
	v_fmac_f32_e32 v39, v50, v51
	v_add_co_u32 v22, vcc_lo, s4, v23
	v_fmac_f32_e32 v38, v37, v43
	s_wait_alu 0xfffd
	v_add_co_ci_u32_e32 v23, vcc_lo, s5, v24, vcc_lo
	v_mul_f32_e32 v37, v45, v48
	s_wait_loadcnt_dscnt 0x1003
	v_dual_mul_f32 v7, v54, v56 :: v_dual_sub_f32 v44, v11, v90
	s_wait_dscnt 0x2
	v_sub_f32_e32 v50, v12, v93
	v_dual_mul_f32 v43, v53, v56 :: v_dual_add_nc_u32 v24, 0x6c, v31
	v_mad_co_u64_u32 v[27:28], null, s8, v31, v[0:1]
	v_fmac_f32_e32 v37, v46, v47
	s_wait_dscnt 0x0
	v_dual_sub_f32 v45, v10, v89 :: v_dual_sub_f32 v46, v17, v92
	v_fma_f32 v48, v11, 2.0, -v44
	v_fmac_f32_e32 v43, v55, v54
	v_sub_f32_e32 v47, v16, v91
	s_wait_loadcnt 0xe
	v_mul_f32_e32 v51, v57, v60
	v_mad_co_u64_u32 v[25:26], null, s8, v30, v[0:1]
	v_dual_mov_b32 v26, v4 :: v_dual_add_nc_u32 v33, 0x6c, v30
	s_wait_loadcnt 0xc
	v_mul_f32_e32 v11, v62, v64
	v_mad_co_u64_u32 v[29:30], null, s8, v32, v[0:1]
	v_dual_sub_f32 v52, v9, v98 :: v_dual_add_nc_u32 v35, 0x6c, v32
	v_mad_co_u64_u32 v[31:32], null, s8, v33, v[0:1]
	v_mad_co_u64_u32 v[33:34], null, s8, v24, v[0:1]
	v_lshlrev_b64_e32 v[24:25], 3, v[25:26]
	v_fma_f32 v26, v53, v55, -v7
	v_mul_f32_e32 v7, v58, v60
	s_wait_loadcnt 0xa
	v_dual_sub_f32 v53, v8, v97 :: v_dual_mul_f32 v56, v65, v68
	v_mul_f32_e32 v55, v61, v64
	v_fma_f32 v49, v10, 2.0, -v45
	v_fma_f32 v54, v57, v59, -v7
	v_mul_f32_e32 v7, v66, v68
	s_wait_loadcnt 0x8
	v_mul_f32_e32 v57, v70, v72
	v_fma_f32 v10, v16, 2.0, -v47
	v_sub_f32_e32 v16, v13, v95
	v_fmac_f32_e32 v51, v58, v59
	v_fma_f32 v68, v8, 2.0, -v53
	s_wait_loadcnt 0x6
	v_mul_f32_e32 v8, v74, v76
	v_mul_f32_e32 v76, v73, v76
	v_dual_mul_f32 v59, v69, v72 :: v_dual_fmac_f32 v56, v66, v67
	v_fmac_f32_e32 v55, v62, v63
	v_fma_f32 v58, v61, v63, -v11
	v_dual_sub_f32 v60, v2, v96 :: v_dual_sub_f32 v61, v1, v94
	v_fma_f32 v63, v12, 2.0, -v50
	s_wait_loadcnt 0x4
	v_dual_sub_f32 v89, v14, v99 :: v_dual_mul_f32 v66, v77, v80
	v_mul_f32_e32 v12, v78, v80
	v_mul_f32_e32 v80, v45, v38
	v_fma_f32 v65, v65, v67, -v7
	v_dual_mul_f32 v7, v44, v38 :: v_dual_mul_f32 v38, v49, v37
	v_fma_f32 v57, v69, v71, -v57
	s_wait_loadcnt 0x2
	v_dual_mul_f32 v69, v81, v84 :: v_dual_fmac_f32 v66, v78, v79
	v_mov_b32_e32 v30, v4
	v_mad_co_u64_u32 v[35:36], null, s8, v35, v[0:1]
	v_fma_f32 v17, v17, 2.0, -v46
	v_fma_f32 v62, v13, 2.0, -v16
	v_sub_f32_e32 v72, v15, v100
	v_fma_f32 v73, v73, v75, -v8
	v_fmac_f32_e32 v76, v74, v75
	v_fmac_f32_e32 v59, v70, v71
	s_wait_loadcnt 0x0
	v_dual_mul_f32 v70, v86, v88 :: v_dual_mul_f32 v75, v43, v10
	v_mul_f32_e32 v71, v85, v88
	v_dual_mul_f32 v13, v26, v10 :: v_dual_mov_b32 v36, v4
	v_fma_f32 v64, v9, 2.0, -v52
	v_dual_mul_f32 v67, v82, v84 :: v_dual_mul_f32 v74, v47, v39
	v_mul_f32_e32 v9, v48, v37
	v_fma_f32 v77, v77, v79, -v12
	v_fma_f32 v79, v1, 2.0, -v61
	v_mul_f32_e32 v11, v46, v39
	v_fmac_f32_e32 v69, v82, v83
	v_mul_f32_e32 v1, v16, v51
	v_lshlrev_b64_e32 v[29:30], 3, v[29:30]
	v_mov_b32_e32 v32, v4
	v_fma_f32 v78, v2, 2.0, -v60
	v_fma_f32 v84, v15, 2.0, -v72
	;; [unrolled: 1-line block ×3, first 2 shown]
	v_mul_f32_e32 v2, v50, v51
	v_mul_f32_e32 v51, v63, v55
	;; [unrolled: 1-line block ×4, first 2 shown]
	v_fmac_f32_e32 v71, v86, v87
	v_mul_f32_e32 v55, v53, v56
	v_fma_f32 v14, v17, v26, -v75
	v_mul_f32_e32 v26, v61, v76
	v_mul_f32_e32 v56, v68, v59
	v_fmac_f32_e32 v13, v17, v43
	v_add_co_u32 v24, vcc_lo, s4, v24
	v_lshlrev_b64_e32 v[35:36], 3, v[35:36]
	v_fma_f32 v12, v46, v42, -v74
	v_dual_mul_f32 v46, v88, v71 :: v_dual_fmac_f32 v11, v47, v42
	v_mov_b32_e32 v28, v4
	v_fma_f32 v8, v44, v40, -v80
	v_fma_f32 v10, v48, v41, -v38
	v_fmac_f32_e32 v9, v49, v41
	v_dual_mul_f32 v44, v89, v69 :: v_dual_fmac_f32 v1, v50, v54
	s_wait_alu 0xfffd
	v_add_co_ci_u32_e32 v25, vcc_lo, s5, v25, vcc_lo
	v_fmac_f32_e32 v7, v45, v40
	v_lshlrev_b64_e32 v[31:32], 3, v[31:32]
	v_add_co_u32 v29, vcc_lo, s4, v29
	v_mov_b32_e32 v34, v4
	s_clause 0x3
	global_store_b64 v[5:6], v[13:14], off
	global_store_b64 v[20:21], v[11:12], off
	;; [unrolled: 1-line block ×4, first 2 shown]
	v_add_nc_u32_e32 v13, 0x6c, v3
	s_wait_alu 0xfffd
	v_add_co_ci_u32_e32 v30, vcc_lo, s5, v30, vcc_lo
	v_add_co_u32 v35, vcc_lo, s4, v35
	v_lshlrev_b64_e32 v[7:8], 3, v[27:28]
	v_mad_co_u64_u32 v[11:12], null, s8, v3, v[0:1]
	s_wait_alu 0xfffd
	v_add_co_ci_u32_e32 v36, vcc_lo, s5, v36, vcc_lo
	v_add_co_u32 v5, vcc_lo, s4, v31
	v_lshlrev_b64_e32 v[9:10], 3, v[33:34]
	v_mov_b32_e32 v12, v4
	v_mad_co_u64_u32 v[13:14], null, s8, v13, v[0:1]
	s_wait_alu 0xfffd
	v_add_co_ci_u32_e32 v6, vcc_lo, s5, v32, vcc_lo
	v_add_co_u32 v7, vcc_lo, s4, v7
	v_mov_b32_e32 v14, v4
	s_wait_alu 0xfffd
	v_add_co_ci_u32_e32 v8, vcc_lo, s5, v8, vcc_lo
	v_lshlrev_b64_e32 v[11:12], 3, v[11:12]
	v_add_co_u32 v3, vcc_lo, s4, v9
	v_fma_f32 v70, v85, v87, -v70
	v_mul_f32_e32 v45, v84, v71
	v_fma_f32 v67, v81, v83, -v67
	v_mul_f32_e32 v43, v72, v69
	s_wait_alu 0xfffd
	v_add_co_ci_u32_e32 v4, vcc_lo, s5, v10, vcc_lo
	v_lshlrev_b64_e32 v[9:10], 3, v[13:14]
	v_dual_mul_f32 v39, v64, v59 :: v_dual_mul_f32 v42, v79, v66
	v_mul_f32_e32 v41, v78, v66
	v_mul_f32_e32 v17, v60, v76
	v_add_co_u32 v11, vcc_lo, s4, v11
	v_fma_f32 v38, v52, v65, -v55
	v_fmac_f32_e32 v37, v53, v65
	v_fma_f32 v46, v84, v70, -v46
	v_fmac_f32_e32 v45, v88, v70
	v_fma_f32 v2, v16, v54, -v2
	v_fma_f32 v16, v62, v58, -v51
	v_fmac_f32_e32 v15, v63, v58
	v_fma_f32 v44, v72, v67, -v44
	v_fmac_f32_e32 v43, v89, v67
	s_wait_alu 0xfffd
	v_add_co_ci_u32_e32 v12, vcc_lo, s5, v12, vcc_lo
	v_fma_f32 v40, v64, v57, -v56
	v_fmac_f32_e32 v39, v68, v57
	v_add_co_u32 v9, vcc_lo, s4, v9
	v_fma_f32 v42, v78, v77, -v42
	v_fmac_f32_e32 v41, v79, v77
	v_fma_f32 v18, v60, v73, -v26
	v_fmac_f32_e32 v17, v61, v73
	s_wait_alu 0xfffd
	v_add_co_ci_u32_e32 v10, vcc_lo, s5, v10, vcc_lo
	s_clause 0x7
	global_store_b64 v[29:30], v[45:46], off
	global_store_b64 v[35:36], v[43:44], off
	;; [unrolled: 1-line block ×8, first 2 shown]
.LBB0_46:
	s_nop 0
	s_sendmsg sendmsg(MSG_DEALLOC_VGPRS)
	s_endpgm
	.section	.rodata,"a",@progbits
	.p2align	6, 0x0
	.amdhsa_kernel fft_rtc_back_len216_factors_9_6_2_2_wgs_252_tpt_18_dim3_sp_ip_CI_sbcc_twdbase8_2step_dirReg_intrinsicReadWrite
		.amdhsa_group_segment_fixed_size 0
		.amdhsa_private_segment_fixed_size 0
		.amdhsa_kernarg_size 88
		.amdhsa_user_sgpr_count 2
		.amdhsa_user_sgpr_dispatch_ptr 0
		.amdhsa_user_sgpr_queue_ptr 0
		.amdhsa_user_sgpr_kernarg_segment_ptr 1
		.amdhsa_user_sgpr_dispatch_id 0
		.amdhsa_user_sgpr_private_segment_size 0
		.amdhsa_wavefront_size32 1
		.amdhsa_uses_dynamic_stack 0
		.amdhsa_enable_private_segment 0
		.amdhsa_system_sgpr_workgroup_id_x 1
		.amdhsa_system_sgpr_workgroup_id_y 0
		.amdhsa_system_sgpr_workgroup_id_z 0
		.amdhsa_system_sgpr_workgroup_info 0
		.amdhsa_system_vgpr_workitem_id 0
		.amdhsa_next_free_vgpr 101
		.amdhsa_next_free_sgpr 26
		.amdhsa_reserve_vcc 1
		.amdhsa_float_round_mode_32 0
		.amdhsa_float_round_mode_16_64 0
		.amdhsa_float_denorm_mode_32 3
		.amdhsa_float_denorm_mode_16_64 3
		.amdhsa_fp16_overflow 0
		.amdhsa_workgroup_processor_mode 1
		.amdhsa_memory_ordered 1
		.amdhsa_forward_progress 0
		.amdhsa_round_robin_scheduling 0
		.amdhsa_exception_fp_ieee_invalid_op 0
		.amdhsa_exception_fp_denorm_src 0
		.amdhsa_exception_fp_ieee_div_zero 0
		.amdhsa_exception_fp_ieee_overflow 0
		.amdhsa_exception_fp_ieee_underflow 0
		.amdhsa_exception_fp_ieee_inexact 0
		.amdhsa_exception_int_div_zero 0
	.end_amdhsa_kernel
	.text
.Lfunc_end0:
	.size	fft_rtc_back_len216_factors_9_6_2_2_wgs_252_tpt_18_dim3_sp_ip_CI_sbcc_twdbase8_2step_dirReg_intrinsicReadWrite, .Lfunc_end0-fft_rtc_back_len216_factors_9_6_2_2_wgs_252_tpt_18_dim3_sp_ip_CI_sbcc_twdbase8_2step_dirReg_intrinsicReadWrite
                                        ; -- End function
	.section	.AMDGPU.csdata,"",@progbits
; Kernel info:
; codeLenInByte = 9396
; NumSgprs: 28
; NumVgprs: 101
; ScratchSize: 0
; MemoryBound: 0
; FloatMode: 240
; IeeeMode: 1
; LDSByteSize: 0 bytes/workgroup (compile time only)
; SGPRBlocks: 3
; VGPRBlocks: 12
; NumSGPRsForWavesPerEU: 28
; NumVGPRsForWavesPerEU: 101
; Occupancy: 12
; WaveLimiterHint : 1
; COMPUTE_PGM_RSRC2:SCRATCH_EN: 0
; COMPUTE_PGM_RSRC2:USER_SGPR: 2
; COMPUTE_PGM_RSRC2:TRAP_HANDLER: 0
; COMPUTE_PGM_RSRC2:TGID_X_EN: 1
; COMPUTE_PGM_RSRC2:TGID_Y_EN: 0
; COMPUTE_PGM_RSRC2:TGID_Z_EN: 0
; COMPUTE_PGM_RSRC2:TIDIG_COMP_CNT: 0
	.text
	.p2alignl 7, 3214868480
	.fill 96, 4, 3214868480
	.type	__hip_cuid_707cb7cb4c241e5f,@object ; @__hip_cuid_707cb7cb4c241e5f
	.section	.bss,"aw",@nobits
	.globl	__hip_cuid_707cb7cb4c241e5f
__hip_cuid_707cb7cb4c241e5f:
	.byte	0                               ; 0x0
	.size	__hip_cuid_707cb7cb4c241e5f, 1

	.ident	"AMD clang version 19.0.0git (https://github.com/RadeonOpenCompute/llvm-project roc-6.4.0 25133 c7fe45cf4b819c5991fe208aaa96edf142730f1d)"
	.section	".note.GNU-stack","",@progbits
	.addrsig
	.addrsig_sym __hip_cuid_707cb7cb4c241e5f
	.amdgpu_metadata
---
amdhsa.kernels:
  - .args:
      - .actual_access:  read_only
        .address_space:  global
        .offset:         0
        .size:           8
        .value_kind:     global_buffer
      - .address_space:  global
        .offset:         8
        .size:           8
        .value_kind:     global_buffer
      - .actual_access:  read_only
        .address_space:  global
        .offset:         16
        .size:           8
        .value_kind:     global_buffer
      - .actual_access:  read_only
        .address_space:  global
        .offset:         24
        .size:           8
        .value_kind:     global_buffer
      - .offset:         32
        .size:           8
        .value_kind:     by_value
      - .actual_access:  read_only
        .address_space:  global
        .offset:         40
        .size:           8
        .value_kind:     global_buffer
      - .actual_access:  read_only
        .address_space:  global
        .offset:         48
        .size:           8
        .value_kind:     global_buffer
      - .offset:         56
        .size:           4
        .value_kind:     by_value
      - .actual_access:  read_only
        .address_space:  global
        .offset:         64
        .size:           8
        .value_kind:     global_buffer
      - .actual_access:  read_only
        .address_space:  global
        .offset:         72
        .size:           8
        .value_kind:     global_buffer
      - .address_space:  global
        .offset:         80
        .size:           8
        .value_kind:     global_buffer
    .group_segment_fixed_size: 0
    .kernarg_segment_align: 8
    .kernarg_segment_size: 88
    .language:       OpenCL C
    .language_version:
      - 2
      - 0
    .max_flat_workgroup_size: 252
    .name:           fft_rtc_back_len216_factors_9_6_2_2_wgs_252_tpt_18_dim3_sp_ip_CI_sbcc_twdbase8_2step_dirReg_intrinsicReadWrite
    .private_segment_fixed_size: 0
    .sgpr_count:     28
    .sgpr_spill_count: 0
    .symbol:         fft_rtc_back_len216_factors_9_6_2_2_wgs_252_tpt_18_dim3_sp_ip_CI_sbcc_twdbase8_2step_dirReg_intrinsicReadWrite.kd
    .uniform_work_group_size: 1
    .uses_dynamic_stack: false
    .vgpr_count:     101
    .vgpr_spill_count: 0
    .wavefront_size: 32
    .workgroup_processor_mode: 1
amdhsa.target:   amdgcn-amd-amdhsa--gfx1201
amdhsa.version:
  - 1
  - 2
...

	.end_amdgpu_metadata
